;; amdgpu-corpus repo=zjin-lcf/HeCBench kind=compiled arch=gfx1250 opt=O3
	.amdgcn_target "amdgcn-amd-amdhsa--gfx1250"
	.amdhsa_code_object_version 6
	.text
	.protected	_Z38modulated_deformable_im2col_gpu_kerneliPKfS0_S0_iiiiiiiiiiiiiiiiPf ; -- Begin function _Z38modulated_deformable_im2col_gpu_kerneliPKfS0_S0_iiiiiiiiiiiiiiiiPf
	.globl	_Z38modulated_deformable_im2col_gpu_kerneliPKfS0_S0_iiiiiiiiiiiiiiiiPf
	.p2align	8
	.type	_Z38modulated_deformable_im2col_gpu_kerneliPKfS0_S0_iiiiiiiiiiiiiiiiPf,@function
_Z38modulated_deformable_im2col_gpu_kerneliPKfS0_S0_iiiiiiiiiiiiiiiiPf: ; @_Z38modulated_deformable_im2col_gpu_kerneliPKfS0_S0_iiiiiiiiiiiiiiiiPf
; %bb.0:
	s_clause 0x1
	s_load_b32 s2, s[0:1], 0x74
	s_load_b32 s3, s[0:1], 0x0
	s_bfe_u32 s4, ttmp6, 0x4000c
	s_and_b32 s5, ttmp6, 15
	s_add_co_i32 s4, s4, 1
	s_getreg_b32 s6, hwreg(HW_REG_IB_STS2, 6, 4)
	s_mul_i32 s4, ttmp9, s4
	s_mov_b32 s25, 0
	s_add_co_i32 s5, s5, s4
	s_wait_kmcnt 0x0
	s_and_b32 s2, s2, 0xffff
	s_cmp_eq_u32 s6, 0
	s_cselect_b32 s4, ttmp9, s5
	s_delay_alu instid0(SALU_CYCLE_1) | instskip(SKIP_1) | instid1(VALU_DEP_1)
	v_mad_u32 v18, s4, s2, v0
	s_mov_b32 s4, exec_lo
	v_cmpx_gt_i32_e64 s3, v18
	s_cbranch_execz .LBB0_19
; %bb.1:
	s_load_b512 s[4:19], s[0:1], 0x20
	s_add_nc_u64 s[30:31], s[0:1], 0x68
	s_load_b32 s46, s[30:31], 0x0
	s_clause 0x2
	s_load_b128 s[20:23], s[0:1], 0x8
	s_load_b64 s[26:27], s[0:1], 0x18
	s_load_b64 s[28:29], s[0:1], 0x60
	s_wait_xcnt 0x0
	s_mov_b32 s31, s25
	s_mov_b32 s39, s25
	;; [unrolled: 1-line block ×3, first 2 shown]
	s_wait_kmcnt 0x0
	s_mul_i32 s46, s46, s2
	s_mul_i32 s44, s7, s18
	;; [unrolled: 1-line block ×4, first 2 shown]
	s_cvt_f32_i32 s42, s4
	s_mul_i32 s0, s0, s6
	s_cvt_f32_i32 s43, s5
	s_lshl_b32 s45, s0, 1
	s_cmp_gt_i32 s6, 0
	s_mul_i32 s44, s44, s6
	s_cselect_b32 s47, -1, 0
	s_cmp_gt_i32 s7, 0
	s_mul_i32 s33, s5, s4
	s_cselect_b32 s49, -1, 0
	s_abs_i32 s52, s19
	s_abs_i32 s54, s18
	s_cvt_f32_u32 s0, s52
	s_cvt_f32_u32 s1, s54
	s_abs_i32 s55, s16
	s_abs_i32 s56, s15
	s_cvt_f32_u32 s2, s55
	v_rcp_iflag_f32_e32 v0, s0
	v_rcp_iflag_f32_e32 v1, s1
	s_cvt_f32_u32 s15, s56
	v_rcp_iflag_f32_e32 v2, s2
	s_abs_i32 s57, s14
	s_sub_co_i32 s1, 0, s54
	s_cvt_f32_u32 s37, s57
	v_readfirstlane_b32 s24, v0
	v_readfirstlane_b32 s30, v1
	v_rcp_iflag_f32_e32 v0, s15
	v_readfirstlane_b32 s36, v2
	v_rcp_iflag_f32_e32 v1, s37
	s_mul_f32 s15, s24, 0x4f7ffffe
	s_mul_f32 s24, s30, 0x4f7ffffe
	s_sub_co_i32 s0, 0, s52
	s_mul_f32 s30, s36, 0x4f7ffffe
	s_cvt_u32_f32 s15, s15
	s_cvt_u32_f32 s36, s24
	v_readfirstlane_b32 s38, v0
	s_cvt_u32_f32 s37, s30
	s_mul_i32 s0, s0, s15
	s_mul_i32 s1, s1, s36
	s_mul_hi_u32 s0, s15, s0
	s_mul_hi_u32 s1, s36, s1
	s_sub_co_i32 s2, 0, s55
	s_add_co_i32 s30, s36, s1
	v_readfirstlane_b32 s1, v1
	s_add_co_i32 s24, s15, s0
	s_mul_f32 s0, s38, 0x4f7ffffe
	s_mul_i32 s2, s2, s37
	s_sub_co_i32 s15, 0, s57
	s_mul_f32 s1, s1, 0x4f7ffffe
	s_mul_hi_u32 s2, s37, s2
	s_cvt_u32_f32 s0, s0
	s_add_co_i32 s36, s37, s2
	s_sub_co_i32 s2, 0, s56
	s_cvt_u32_f32 s1, s1
	s_mul_i32 s2, s2, s0
	s_ashr_i32 s35, s34, 31
	s_mul_hi_u32 s2, s0, s2
	s_mul_i32 s15, s15, s1
	v_mov_b32_e32 v1, 0
	s_add_co_i32 s38, s0, s2
	s_mul_hi_u32 s0, s1, s15
	s_lshl_b64 s[40:41], s[34:35], 2
	s_mul_i32 s35, s34, s7
	s_mul_i32 s48, s44, s19
	s_add_co_i32 s50, s5, -1
	s_add_co_i32 s4, s4, -1
	s_ashr_i32 s51, s19, 31
	s_ashr_i32 s53, s18, 31
	;; [unrolled: 1-line block ×3, first 2 shown]
	s_mov_b32 s37, s25
	s_ashr_i32 s59, s14, 31
	s_add_co_i32 s14, s1, s0
	s_mov_b32 s15, s25
	s_sub_co_i32 s9, 0, s9
	s_lshl_b32 s60, s35, 1
	s_lshl_b32 s61, s34, 1
	s_branch .LBB0_3
.LBB0_2:                                ;   in Loop: Header=BB0_3 Depth=1
	v_add_nc_u32_e32 v18, s46, v18
	s_delay_alu instid0(VALU_DEP_1) | instskip(SKIP_1) | instid1(SALU_CYCLE_1)
	v_cmp_le_i32_e32 vcc_lo, s3, v18
	s_or_b32 s62, vcc_lo, s62
	s_and_not1_b32 exec_lo, exec_lo, s62
	s_cbranch_execz .LBB0_19
.LBB0_3:                                ; =>This Loop Header: Depth=1
                                        ;     Child Loop BB0_6 Depth 2
                                        ;       Child Loop BB0_10 Depth 3
	s_and_not1_b32 vcc_lo, exec_lo, s47
	s_cbranch_vccnz .LBB0_2
; %bb.4:                                ;   in Loop: Header=BB0_3 Depth=1
	v_sub_nc_u32_e32 v0, 0, v18
	s_mov_b32 s63, 0
	s_delay_alu instid0(VALU_DEP_1) | instskip(NEXT) | instid1(VALU_DEP_1)
	v_max_i32_e32 v0, v18, v0
	v_mul_u64_e32 v[2:3], s[24:25], v[0:1]
	s_delay_alu instid0(VALU_DEP_1) | instskip(NEXT) | instid1(VALU_DEP_1)
	v_mul_lo_u32 v2, v3, s52
	v_dual_sub_nc_u32 v0, v0, v2 :: v_dual_add_nc_u32 v2, 1, v3
	s_delay_alu instid0(VALU_DEP_1) | instskip(SKIP_1) | instid1(VALU_DEP_3)
	v_subrev_nc_u32_e32 v4, s52, v0
	v_cmp_le_u32_e32 vcc_lo, s52, v0
	v_cndmask_b32_e32 v2, v3, v2, vcc_lo
	s_delay_alu instid0(VALU_DEP_3) | instskip(NEXT) | instid1(VALU_DEP_2)
	v_dual_cndmask_b32 v0, v0, v4 :: v_dual_ashrrev_i32 v3, 31, v18
	v_add_nc_u32_e32 v4, 1, v2
	s_delay_alu instid0(VALU_DEP_2) | instskip(NEXT) | instid1(VALU_DEP_2)
	v_cmp_le_u32_e32 vcc_lo, s52, v0
	v_dual_cndmask_b32 v0, v2, v4, vcc_lo :: v_dual_bitop2_b32 v3, s51, v3 bitop3:0x14
	s_delay_alu instid0(VALU_DEP_1) | instskip(NEXT) | instid1(VALU_DEP_1)
	v_xor_b32_e32 v0, v0, v3
	v_sub_nc_u32_e32 v4, v0, v3
	s_delay_alu instid0(VALU_DEP_1) | instskip(NEXT) | instid1(VALU_DEP_1)
	v_sub_nc_u32_e32 v0, 0, v4
	v_max_i32_e32 v0, v4, v0
	s_delay_alu instid0(VALU_DEP_1) | instskip(NEXT) | instid1(VALU_DEP_1)
	v_mul_u64_e32 v[2:3], s[30:31], v[0:1]
	v_mul_lo_u32 v2, v3, s54
	s_delay_alu instid0(VALU_DEP_1) | instskip(NEXT) | instid1(VALU_DEP_1)
	v_dual_sub_nc_u32 v0, v0, v2 :: v_dual_add_nc_u32 v2, 1, v3
	v_subrev_nc_u32_e32 v5, s54, v0
	v_cmp_le_u32_e32 vcc_lo, s54, v0
	s_delay_alu instid0(VALU_DEP_3) | instskip(NEXT) | instid1(VALU_DEP_1)
	v_dual_cndmask_b32 v2, v3, v2 :: v_dual_ashrrev_i32 v3, 31, v4
	v_dual_cndmask_b32 v0, v0, v5 :: v_dual_add_nc_u32 v5, 1, v2
	s_delay_alu instid0(VALU_DEP_1) | instskip(NEXT) | instid1(VALU_DEP_2)
	v_cmp_le_u32_e32 vcc_lo, s54, v0
	v_dual_cndmask_b32 v0, v2, v5, vcc_lo :: v_dual_bitop2_b32 v6, s53, v3 bitop3:0x14
	s_delay_alu instid0(VALU_DEP_1) | instskip(NEXT) | instid1(VALU_DEP_1)
	v_xor_b32_e32 v5, v0, v6
	v_sub_nc_u32_e32 v7, v5, v6
	s_delay_alu instid0(VALU_DEP_1) | instskip(NEXT) | instid1(VALU_DEP_1)
	v_sub_nc_u32_e32 v0, 0, v7
	v_max_i32_e32 v0, v7, v0
	s_delay_alu instid0(VALU_DEP_1) | instskip(NEXT) | instid1(VALU_DEP_1)
	v_mul_u64_e32 v[2:3], s[36:37], v[0:1]
	v_mul_lo_u32 v2, v3, s55
	s_delay_alu instid0(VALU_DEP_1) | instskip(NEXT) | instid1(VALU_DEP_1)
	v_dual_sub_nc_u32 v0, v0, v2 :: v_dual_add_nc_u32 v2, 1, v3
	v_cmp_le_u32_e32 vcc_lo, s55, v0
	s_delay_alu instid0(VALU_DEP_2) | instskip(SKIP_1) | instid1(VALU_DEP_1)
	v_cndmask_b32_e32 v2, v3, v2, vcc_lo
	v_subrev_nc_u32_e32 v8, s55, v0
	v_dual_cndmask_b32 v0, v0, v8 :: v_dual_ashrrev_i32 v3, 31, v7
	s_delay_alu instid0(VALU_DEP_3) | instskip(NEXT) | instid1(VALU_DEP_2)
	v_add_nc_u32_e32 v8, 1, v2
	v_cmp_le_u32_e32 vcc_lo, s55, v0
	s_delay_alu instid0(VALU_DEP_2) | instskip(NEXT) | instid1(VALU_DEP_1)
	v_dual_cndmask_b32 v0, v2, v8, vcc_lo :: v_dual_bitop2_b32 v3, s58, v3 bitop3:0x14
	v_xor_b32_e32 v0, v0, v3
	s_delay_alu instid0(VALU_DEP_1) | instskip(NEXT) | instid1(VALU_DEP_1)
	v_sub_nc_u32_e32 v8, v0, v3
	v_sub_nc_u32_e32 v0, 0, v8
	s_delay_alu instid0(VALU_DEP_1) | instskip(NEXT) | instid1(VALU_DEP_1)
	v_max_i32_e32 v0, v8, v0
	v_mul_u64_e32 v[2:3], s[38:39], v[0:1]
	v_mul_lo_u32 v2, v8, s16
	s_delay_alu instid0(VALU_DEP_1) | instskip(NEXT) | instid1(VALU_DEP_1)
	v_sub_nc_u32_e32 v9, v7, v2
	v_dual_sub_nc_u32 v2, 0, v9 :: v_dual_ashrrev_i32 v12, 31, v9
	s_delay_alu instid0(VALU_DEP_4) | instskip(NEXT) | instid1(VALU_DEP_1)
	v_mul_lo_u32 v3, v3, s56
	v_dual_sub_nc_u32 v10, v0, v3 :: v_dual_max_i32 v0, v9, v2
	s_delay_alu instid0(VALU_DEP_1) | instskip(NEXT) | instid1(VALU_DEP_2)
	v_cmp_le_u32_e32 vcc_lo, s56, v10
	v_mul_u64_e32 v[2:3], s[14:15], v[0:1]
	v_subrev_nc_u32_e32 v2, s56, v10
	s_delay_alu instid0(VALU_DEP_1) | instskip(NEXT) | instid1(VALU_DEP_1)
	v_cndmask_b32_e32 v2, v10, v2, vcc_lo
	v_subrev_nc_u32_e32 v11, s56, v2
	v_cmp_le_u32_e32 vcc_lo, s56, v2
	s_delay_alu instid0(VALU_DEP_2) | instskip(SKIP_1) | instid1(VALU_DEP_1)
	v_cndmask_b32_e32 v2, v2, v11, vcc_lo
	v_mul_lo_u32 v10, v3, s57
	v_dual_ashrrev_i32 v8, 31, v8 :: v_dual_sub_nc_u32 v0, v0, v10
	s_delay_alu instid0(VALU_DEP_1) | instskip(NEXT) | instid1(VALU_DEP_2)
	v_dual_add_nc_u32 v10, 1, v3 :: v_dual_bitop2_b32 v2, v2, v8 bitop3:0x14
	v_subrev_nc_u32_e32 v11, s57, v0
	v_cmp_le_u32_e32 vcc_lo, s57, v0
	s_delay_alu instid0(VALU_DEP_2) | instskip(NEXT) | instid1(VALU_DEP_4)
	v_dual_sub_nc_u32 v2, v2, v8 :: v_dual_cndmask_b32 v0, v0, v11, vcc_lo
	v_cndmask_b32_e32 v3, v3, v10, vcc_lo
	v_mul_lo_u32 v10, v7, s18
	s_delay_alu instid0(VALU_DEP_3) | instskip(SKIP_3) | instid1(VALU_DEP_1)
	v_mad_u32 v9, v2, s16, v9
	v_xor_b32_e32 v11, s59, v12
	v_cmp_le_u32_e32 vcc_lo, s57, v0
	v_add_nc_u32_e32 v8, 1, v3
	v_dual_cndmask_b32 v0, v3, v8 :: v_dual_sub_nc_u32 v3, v4, v10
	v_mul_lo_u32 v10, v4, s19
	s_delay_alu instid0(VALU_DEP_2) | instskip(NEXT) | instid1(VALU_DEP_3)
	v_dual_sub_nc_u32 v4, v6, v5 :: v_dual_bitop2_b32 v0, v0, v11 bitop3:0x14
	v_mad_u32 v8, s44, v9, v3
	v_mul_lo_u32 v14, v3, s10
	s_delay_alu instid0(VALU_DEP_3) | instskip(NEXT) | instid1(VALU_DEP_4)
	v_mul_lo_u32 v5, s34, v4
	v_sub_nc_u32_e32 v0, v0, v11
	v_mul_lo_u32 v11, s34, v7
	v_mul_lo_u32 v4, s33, v9
	v_sub_nc_u32_e32 v6, v18, v10
	s_delay_alu instid0(VALU_DEP_4) | instskip(SKIP_1) | instid1(VALU_DEP_3)
	v_mad_u32 v0, v2, s17, v0
	v_mul_lo_u32 v2, v8, s19
	v_ashrrev_i32_e32 v7, 31, v6
	v_add3_u32 v19, v5, s34, v18
	v_subrev_nc_u32_e32 v21, s8, v14
	v_dual_sub_nc_u32 v20, v18, v11 :: v_dual_ashrrev_i32 v5, 31, v4
	v_mul_lo_u32 v8, s45, v0
	v_mul_lo_u32 v10, s48, v0
	v_mad_u32 v0, v6, s11, s9
	s_delay_alu instid0(VALU_DEP_4) | instskip(NEXT) | instid1(VALU_DEP_1)
	v_dual_mov_b32 v22, v20 :: v_dual_ashrrev_i32 v3, 31, v2
	v_lshl_add_u64 v[12:13], v[2:3], 2, s[28:29]
	v_lshl_add_u64 v[2:3], v[4:5], 2, s[20:21]
	v_dual_ashrrev_i32 v9, 31, v8 :: v_dual_ashrrev_i32 v11, 31, v10
	s_delay_alu instid0(VALU_DEP_3) | instskip(NEXT) | instid1(VALU_DEP_2)
	v_lshl_add_u64 v[4:5], v[6:7], 2, v[12:13]
	v_lshl_add_u64 v[6:7], v[8:9], 2, s[22:23]
	s_delay_alu instid0(VALU_DEP_3)
	v_lshl_add_u64 v[8:9], v[10:11], 2, s[26:27]
	s_branch .LBB0_6
.LBB0_5:                                ;   in Loop: Header=BB0_6 Depth=2
	v_dual_add_nc_u32 v19, s60, v19 :: v_dual_add_nc_u32 v22, s60, v22
	v_add_nc_u32_e32 v20, s35, v20
	s_add_co_i32 s63, s63, 1
	s_delay_alu instid0(SALU_CYCLE_1)
	s_cmp_eq_u32 s63, s6
	s_cbranch_scc1 .LBB0_2
.LBB0_6:                                ;   Parent Loop BB0_3 Depth=1
                                        ; =>  This Loop Header: Depth=2
                                        ;       Child Loop BB0_10 Depth 3
	s_and_not1_b32 vcc_lo, exec_lo, s49
	s_cbranch_vccnz .LBB0_5
; %bb.7:                                ;   in Loop: Header=BB0_6 Depth=2
	v_mad_u32 v11, s63, s12, v21
	v_dual_mov_b32 v10, v20 :: v_dual_mov_b32 v24, v0
	s_mov_b32 s64, 0
	s_mov_b32 s65, s7
	s_delay_alu instid0(VALU_DEP_2)
	v_cvt_f32_i32_e32 v23, v11
	s_branch .LBB0_10
.LBB0_8:                                ;   in Loop: Header=BB0_10 Depth=3
	s_wait_xcnt 0x0
	s_or_b32 exec_lo, exec_lo, s0
	v_cvt_f32_i32_e32 v15, v27
	v_cvt_f32_i32_e32 v27, v14
	s_delay_alu instid0(VALU_DEP_2) | instskip(NEXT) | instid1(VALU_DEP_1)
	v_sub_f32_e32 v14, v26, v15
	v_dual_sub_f32 v27, v25, v27 :: v_dual_sub_f32 v28, 1.0, v14
	s_delay_alu instid0(VALU_DEP_1) | instskip(NEXT) | instid1(VALU_DEP_1)
	v_sub_f32_e32 v26, 1.0, v27
	v_pk_mul_f32 v[28:29], v[28:29], v[26:27] op_sel_hi:[0,1]
	s_wait_loadcnt 0x0
	s_delay_alu instid0(VALU_DEP_1) | instskip(NEXT) | instid1(VALU_DEP_1)
	v_pk_mul_f32 v[12:13], v[28:29], v[12:13]
	v_add_f32_e32 v12, v12, v13
	v_pk_mul_f32 v[14:15], v[14:15], v[26:27] op_sel_hi:[0,1]
	s_delay_alu instid0(VALU_DEP_1) | instskip(NEXT) | instid1(VALU_DEP_1)
	v_pk_mul_f32 v[14:15], v[14:15], v[16:17]
	v_add_f32_e32 v12, v12, v14
	s_delay_alu instid0(VALU_DEP_1)
	v_add_f32_e32 v12, v12, v15
.LBB0_9:                                ;   in Loop: Header=BB0_10 Depth=3
	s_or_b32 exec_lo, exec_lo, s2
	s_wait_loadcnt 0x0
	s_delay_alu instid0(VALU_DEP_1)
	v_dual_mul_f32 v11, v11, v12 :: v_dual_add_nc_u32 v10, s34, v10
	v_add_nc_u32_e32 v24, s13, v24
	s_add_co_i32 s65, s65, -1
	s_add_co_i32 s64, s64, s61
	global_store_b32 v[4:5], v11, off
	s_wait_xcnt 0x0
	v_add_nc_u64_e32 v[4:5], s[40:41], v[4:5]
	s_cmp_eq_u32 s65, 0
	s_cbranch_scc1 .LBB0_5
.LBB0_10:                               ;   Parent Loop BB0_3 Depth=1
                                        ;     Parent Loop BB0_6 Depth=2
                                        ; =>    This Inner Loop Header: Depth=3
	v_dual_add_nc_u32 v12, s64, v22 :: v_dual_add_nc_u32 v14, s64, v19
	s_delay_alu instid0(VALU_DEP_1) | instskip(NEXT) | instid1(VALU_DEP_1)
	v_dual_ashrrev_i32 v13, 31, v12 :: v_dual_ashrrev_i32 v15, 31, v14
	v_lshl_add_u64 v[12:13], v[12:13], 2, v[6:7]
	s_delay_alu instid0(VALU_DEP_2)
	v_lshl_add_u64 v[14:15], v[14:15], 2, v[6:7]
	s_clause 0x1
	global_load_b32 v16, v[12:13], off
	global_load_b32 v14, v[14:15], off
	s_wait_loadcnt 0x1
	v_dual_add_f32 v26, v16, v23 :: v_dual_ashrrev_i32 v11, 31, v10
	s_wait_xcnt 0x1
	s_delay_alu instid0(VALU_DEP_1) | instskip(NEXT) | instid1(VALU_DEP_2)
	v_lshl_add_u64 v[12:13], v[10:11], 2, v[8:9]
	v_cmp_lt_f32_e32 vcc_lo, -1.0, v26
	global_load_b32 v11, v[12:13], off
	s_wait_xcnt 0x0
	v_cvt_f32_i32_e32 v12, v24
	v_cmp_gt_f32_e64 s1, s42, v26
	s_wait_loadcnt 0x1
	s_delay_alu instid0(VALU_DEP_2) | instskip(NEXT) | instid1(VALU_DEP_1)
	v_dual_add_f32 v25, v14, v12 :: v_dual_mov_b32 v12, 0
	v_cmp_lt_f32_e64 s0, -1.0, v25
	v_cmp_gt_f32_e64 s2, s43, v25
	s_and_b32 s0, vcc_lo, s0
	s_delay_alu instid0(SALU_CYCLE_1) | instskip(NEXT) | instid1(SALU_CYCLE_1)
	s_and_b32 s0, s1, s0
	s_and_b32 s0, s0, s2
	s_delay_alu instid0(SALU_CYCLE_1)
	s_and_saveexec_b32 s2, s0
	s_cbranch_execz .LBB0_9
; %bb.11:                               ;   in Loop: Header=BB0_10 Depth=3
	v_floor_f32_e32 v12, v26
	v_floor_f32_e32 v13, v25
	s_delay_alu instid0(VALU_DEP_2) | instskip(NEXT) | instid1(VALU_DEP_2)
	v_cvt_i32_f32_e32 v27, v12
	v_cvt_i32_f32_e32 v14, v13
	v_mov_b32_e32 v13, 0
	s_delay_alu instid0(VALU_DEP_3) | instskip(NEXT) | instid1(VALU_DEP_3)
	v_cmp_lt_i32_e64 s1, -1, v27
	v_or_b32_e32 v12, v27, v14
	v_cmp_lt_i32_e32 vcc_lo, -1, v14
	s_delay_alu instid0(VALU_DEP_2)
	v_cmp_lt_i32_e64 s0, -1, v12
	v_mov_b32_e32 v12, 0
	s_and_saveexec_b32 s66, s0
	s_cbranch_execz .LBB0_13
; %bb.12:                               ;   in Loop: Header=BB0_10 Depth=3
	v_mad_u32 v16, s5, v27, v14
	s_delay_alu instid0(VALU_DEP_1) | instskip(NEXT) | instid1(VALU_DEP_1)
	v_ashrrev_i32_e32 v17, 31, v16
	v_lshl_add_u64 v[16:17], v[16:17], 2, v[2:3]
	global_load_b32 v12, v[16:17], off
.LBB0_13:                               ;   in Loop: Header=BB0_10 Depth=3
	s_wait_xcnt 0x0
	s_or_b32 exec_lo, exec_lo, s66
	v_cmp_gt_i32_e64 s0, s50, v14
	v_ashrrev_i32_e32 v15, 31, v14
	s_and_b32 s66, s1, s0
	s_delay_alu instid0(SALU_CYCLE_1)
	s_and_saveexec_b32 s1, s66
	s_cbranch_execz .LBB0_15
; %bb.14:                               ;   in Loop: Header=BB0_10 Depth=3
	v_mul_lo_u32 v16, s5, v27
	s_delay_alu instid0(VALU_DEP_1) | instskip(NEXT) | instid1(VALU_DEP_1)
	v_ashrrev_i32_e32 v17, 31, v16
	v_add_nc_u64_e32 v[16:17], v[14:15], v[16:17]
	s_delay_alu instid0(VALU_DEP_1)
	v_lshl_add_u64 v[16:17], v[16:17], 2, v[2:3]
	global_load_b32 v13, v[16:17], off offset:4
.LBB0_15:                               ;   in Loop: Header=BB0_10 Depth=3
	s_wait_xcnt 0x0
	s_or_b32 exec_lo, exec_lo, s1
	v_cmp_gt_i32_e64 s1, s4, v27
	v_dual_mov_b32 v17, 0 :: v_dual_add_nc_u32 v28, 1, v27
	v_mov_b32_e32 v16, 0
	s_and_b32 s67, s1, vcc_lo
	s_delay_alu instid0(SALU_CYCLE_1)
	s_and_saveexec_b32 s66, s67
	s_cbranch_execz .LBB0_17
; %bb.16:                               ;   in Loop: Header=BB0_10 Depth=3
	v_mad_u32 v30, v28, s5, v14
	s_delay_alu instid0(VALU_DEP_1) | instskip(NEXT) | instid1(VALU_DEP_1)
	v_ashrrev_i32_e32 v31, 31, v30
	v_lshl_add_u64 v[30:31], v[30:31], 2, v[2:3]
	global_load_b32 v16, v[30:31], off
.LBB0_17:                               ;   in Loop: Header=BB0_10 Depth=3
	s_wait_xcnt 0x0
	s_or_b32 exec_lo, exec_lo, s66
	s_and_b32 s1, s1, s0
	s_delay_alu instid0(SALU_CYCLE_1)
	s_and_saveexec_b32 s0, s1
	s_cbranch_execz .LBB0_8
; %bb.18:                               ;   in Loop: Header=BB0_10 Depth=3
	v_mul_lo_u32 v28, v28, s5
	s_delay_alu instid0(VALU_DEP_1) | instskip(NEXT) | instid1(VALU_DEP_1)
	v_ashrrev_i32_e32 v29, 31, v28
	v_add_nc_u64_e32 v[28:29], v[28:29], v[14:15]
	s_delay_alu instid0(VALU_DEP_1)
	v_lshl_add_u64 v[28:29], v[28:29], 2, v[2:3]
	global_load_b32 v17, v[28:29], off offset:4
	s_branch .LBB0_8
.LBB0_19:
	s_endpgm
	.section	.rodata,"a",@progbits
	.p2align	6, 0x0
	.amdhsa_kernel _Z38modulated_deformable_im2col_gpu_kerneliPKfS0_S0_iiiiiiiiiiiiiiiiPf
		.amdhsa_group_segment_fixed_size 0
		.amdhsa_private_segment_fixed_size 0
		.amdhsa_kernarg_size 360
		.amdhsa_user_sgpr_count 2
		.amdhsa_user_sgpr_dispatch_ptr 0
		.amdhsa_user_sgpr_queue_ptr 0
		.amdhsa_user_sgpr_kernarg_segment_ptr 1
		.amdhsa_user_sgpr_dispatch_id 0
		.amdhsa_user_sgpr_kernarg_preload_length 0
		.amdhsa_user_sgpr_kernarg_preload_offset 0
		.amdhsa_user_sgpr_private_segment_size 0
		.amdhsa_wavefront_size32 1
		.amdhsa_uses_dynamic_stack 0
		.amdhsa_enable_private_segment 0
		.amdhsa_system_sgpr_workgroup_id_x 1
		.amdhsa_system_sgpr_workgroup_id_y 0
		.amdhsa_system_sgpr_workgroup_id_z 0
		.amdhsa_system_sgpr_workgroup_info 0
		.amdhsa_system_vgpr_workitem_id 0
		.amdhsa_next_free_vgpr 32
		.amdhsa_next_free_sgpr 68
		.amdhsa_named_barrier_count 0
		.amdhsa_reserve_vcc 1
		.amdhsa_float_round_mode_32 0
		.amdhsa_float_round_mode_16_64 0
		.amdhsa_float_denorm_mode_32 3
		.amdhsa_float_denorm_mode_16_64 3
		.amdhsa_fp16_overflow 0
		.amdhsa_memory_ordered 1
		.amdhsa_forward_progress 1
		.amdhsa_inst_pref_size 17
		.amdhsa_round_robin_scheduling 0
		.amdhsa_exception_fp_ieee_invalid_op 0
		.amdhsa_exception_fp_denorm_src 0
		.amdhsa_exception_fp_ieee_div_zero 0
		.amdhsa_exception_fp_ieee_overflow 0
		.amdhsa_exception_fp_ieee_underflow 0
		.amdhsa_exception_fp_ieee_inexact 0
		.amdhsa_exception_int_div_zero 0
	.end_amdhsa_kernel
	.text
.Lfunc_end0:
	.size	_Z38modulated_deformable_im2col_gpu_kerneliPKfS0_S0_iiiiiiiiiiiiiiiiPf, .Lfunc_end0-_Z38modulated_deformable_im2col_gpu_kerneliPKfS0_S0_iiiiiiiiiiiiiiiiPf
                                        ; -- End function
	.set _Z38modulated_deformable_im2col_gpu_kerneliPKfS0_S0_iiiiiiiiiiiiiiiiPf.num_vgpr, 32
	.set _Z38modulated_deformable_im2col_gpu_kerneliPKfS0_S0_iiiiiiiiiiiiiiiiPf.num_agpr, 0
	.set _Z38modulated_deformable_im2col_gpu_kerneliPKfS0_S0_iiiiiiiiiiiiiiiiPf.numbered_sgpr, 68
	.set _Z38modulated_deformable_im2col_gpu_kerneliPKfS0_S0_iiiiiiiiiiiiiiiiPf.num_named_barrier, 0
	.set _Z38modulated_deformable_im2col_gpu_kerneliPKfS0_S0_iiiiiiiiiiiiiiiiPf.private_seg_size, 0
	.set _Z38modulated_deformable_im2col_gpu_kerneliPKfS0_S0_iiiiiiiiiiiiiiiiPf.uses_vcc, 1
	.set _Z38modulated_deformable_im2col_gpu_kerneliPKfS0_S0_iiiiiiiiiiiiiiiiPf.uses_flat_scratch, 0
	.set _Z38modulated_deformable_im2col_gpu_kerneliPKfS0_S0_iiiiiiiiiiiiiiiiPf.has_dyn_sized_stack, 0
	.set _Z38modulated_deformable_im2col_gpu_kerneliPKfS0_S0_iiiiiiiiiiiiiiiiPf.has_recursion, 0
	.set _Z38modulated_deformable_im2col_gpu_kerneliPKfS0_S0_iiiiiiiiiiiiiiiiPf.has_indirect_call, 0
	.section	.AMDGPU.csdata,"",@progbits
; Kernel info:
; codeLenInByte = 2080
; TotalNumSgprs: 70
; NumVgprs: 32
; ScratchSize: 0
; MemoryBound: 0
; FloatMode: 240
; IeeeMode: 1
; LDSByteSize: 0 bytes/workgroup (compile time only)
; SGPRBlocks: 0
; VGPRBlocks: 1
; NumSGPRsForWavesPerEU: 70
; NumVGPRsForWavesPerEU: 32
; NamedBarCnt: 0
; Occupancy: 16
; WaveLimiterHint : 0
; COMPUTE_PGM_RSRC2:SCRATCH_EN: 0
; COMPUTE_PGM_RSRC2:USER_SGPR: 2
; COMPUTE_PGM_RSRC2:TRAP_HANDLER: 0
; COMPUTE_PGM_RSRC2:TGID_X_EN: 1
; COMPUTE_PGM_RSRC2:TGID_Y_EN: 0
; COMPUTE_PGM_RSRC2:TGID_Z_EN: 0
; COMPUTE_PGM_RSRC2:TIDIG_COMP_CNT: 0
	.text
	.protected	_Z38modulated_deformable_col2im_gpu_kerneliPKfS0_S0_iiiiiiiiiiiiiiiiPf ; -- Begin function _Z38modulated_deformable_col2im_gpu_kerneliPKfS0_S0_iiiiiiiiiiiiiiiiPf
	.globl	_Z38modulated_deformable_col2im_gpu_kerneliPKfS0_S0_iiiiiiiiiiiiiiiiPf
	.p2align	8
	.type	_Z38modulated_deformable_col2im_gpu_kerneliPKfS0_S0_iiiiiiiiiiiiiiiiPf,@function
_Z38modulated_deformable_col2im_gpu_kerneliPKfS0_S0_iiiiiiiiiiiiiiiiPf: ; @_Z38modulated_deformable_col2im_gpu_kerneliPKfS0_S0_iiiiiiiiiiiiiiiiPf
; %bb.0:
	s_clause 0x1
	s_load_b32 s2, s[0:1], 0x74
	s_load_b32 s33, s[0:1], 0x0
	s_bfe_u32 s3, ttmp6, 0x4000c
	s_and_b32 s4, ttmp6, 15
	s_add_co_i32 s3, s3, 1
	s_getreg_b32 s5, hwreg(HW_REG_IB_STS2, 6, 4)
	s_mul_i32 s3, ttmp9, s3
	s_mov_b32 s7, 0
	s_add_co_i32 s4, s4, s3
	s_wait_kmcnt 0x0
	s_and_b32 s2, s2, 0xffff
	s_cmp_eq_u32 s5, 0
	s_cselect_b32 s3, ttmp9, s4
	s_delay_alu instid0(SALU_CYCLE_1) | instskip(SKIP_1) | instid1(VALU_DEP_1)
	v_mad_u32 v2, s3, s2, v0
	s_mov_b32 s3, exec_lo
	v_cmpx_gt_i32_e64 s33, v2
	s_cbranch_execz .LBB1_133
; %bb.1:
	s_load_b512 s[8:23], s[0:1], 0x20
	s_add_nc_u64 s[4:5], s[0:1], 0x68
	s_load_b32 s54, s[4:5], 0x0
	s_clause 0x2
	s_load_b128 s[24:27], s[0:1], 0x8
	s_load_b64 s[28:29], s[0:1], 0x18
	s_load_b64 s[30:31], s[0:1], 0x60
	s_mov_b32 s35, s7
	s_mov_b32 s39, s7
	;; [unrolled: 1-line block ×5, first 2 shown]
	s_wait_kmcnt 0x0
	s_mul_i32 s54, s54, s2
	s_abs_i32 s49, s22
	s_mul_i32 s0, s12, s22
	s_cvt_f32_u32 s2, s49
	s_abs_i32 s47, s23
	s_abs_i32 s51, s20
	s_mul_i32 s55, s0, s23
	v_rcp_iflag_f32_e32 v1, s2
	s_cvt_f32_u32 s0, s47
	s_cvt_f32_u32 s3, s51
	s_abs_i32 s52, s12
	s_abs_i32 s53, s11
	v_rcp_iflag_f32_e32 v0, s0
	v_rcp_iflag_f32_e32 v3, s3
	v_readfirstlane_b32 s5, v1
	s_cvt_f32_u32 s4, s52
	s_sub_co_i32 s0, 0, s49
	s_cvt_f32_u32 s3, s53
	s_abs_i32 s57, s19
	v_rcp_iflag_f32_e32 v4, s4
	v_nop
	v_readfirstlane_b32 s4, v0
	s_mul_f32 s5, s5, 0x4f7ffffe
	v_readfirstlane_b32 s6, v3
	s_sub_co_i32 s1, 0, s47
	s_sub_co_i32 s2, 0, s51
	s_cvt_u32_f32 s5, s5
	s_mul_f32 s4, s4, 0x4f7ffffe
	v_readfirstlane_b32 s34, v4
	s_mul_f32 s6, s6, 0x4f7ffffe
	s_mul_i32 s0, s0, s5
	s_cvt_u32_f32 s4, s4
	s_mul_hi_u32 s0, s5, s0
	s_cvt_u32_f32 s37, s6
	s_mul_f32 s36, s34, 0x4f7ffffe
	s_add_co_i32 s34, s5, s0
	s_cvt_f32_u32 s0, s57
	s_mul_i32 s1, s1, s4
	v_rcp_iflag_f32_e32 v0, s3
	s_mul_hi_u32 s1, s4, s1
	s_mul_i32 s2, s2, s37
	v_rcp_iflag_f32_e32 v1, s0
	s_add_co_i32 s6, s4, s1
	s_mul_hi_u32 s1, s37, s2
	s_cvt_u32_f32 s2, s36
	s_sub_co_i32 s3, 0, s52
	v_nop
	v_readfirstlane_b32 s0, v0
	s_add_co_i32 s36, s37, s1
	s_mul_i32 s3, s3, s2
	s_cvt_f32_u32 s44, s9
	s_mul_hi_u32 s1, s2, s3
	v_readfirstlane_b32 s3, v1
	s_mul_f32 s0, s0, 0x4f7ffffe
	s_add_co_i32 s38, s2, s1
	s_sub_co_i32 s2, 0, s53
	v_mov_b32_e32 v1, 0
	s_mul_f32 s1, s3, 0x4f7ffffe
	s_cvt_u32_f32 s0, s0
	s_sub_co_i32 s3, 0, s57
	s_cvt_f32_u32 s45, s10
	s_cvt_u32_f32 s1, s1
	s_mul_i32 s2, s2, s0
	s_mul_i32 s55, s55, s11
	s_mul_hi_u32 s2, s0, s2
	s_mul_i32 s3, s3, s1
	s_add_co_i32 s40, s0, s2
	s_mul_hi_u32 s0, s1, s3
	s_ashr_i32 s46, s23, 31
	s_ashr_i32 s48, s22, 31
	;; [unrolled: 1-line block ×3, first 2 shown]
	s_lshl_b32 s56, s55, 1
	s_mov_b32 s37, s7
	s_ashr_i32 s58, s12, 31
	s_ashr_i32 s59, s11, 31
	;; [unrolled: 1-line block ×3, first 2 shown]
	s_add_co_i32 s42, s1, s0
	s_mul_i32 s60, s23, s22
	s_mul_i32 s61, s12, s11
	s_sub_co_i32 s23, 0, s23
	s_branch .LBB1_4
.LBB1_2:                                ;   in Loop: Header=BB1_4 Depth=1
	s_or_b32 exec_lo, exec_lo, s4
	s_delay_alu instid0(VALU_DEP_1)
	v_mul_f32_e32 v0, v0, v13
	global_atomic_add_f32 v10, v0, s[30:31] offset:8 scale_offset scope:SCOPE_DEV
.LBB1_3:                                ;   in Loop: Header=BB1_4 Depth=1
	s_wait_xcnt 0x0
	s_or_b32 exec_lo, exec_lo, s64
	v_add_nc_u32_e32 v2, s54, v2
	s_delay_alu instid0(VALU_DEP_1) | instskip(SKIP_1) | instid1(SALU_CYCLE_1)
	v_cmp_le_i32_e32 vcc_lo, s33, v2
	s_or_b32 s62, vcc_lo, s62
	s_and_not1_b32 exec_lo, exec_lo, s62
	s_cbranch_execz .LBB1_133
.LBB1_4:                                ; =>This Inner Loop Header: Depth=1
	v_sub_nc_u32_e32 v0, 0, v2
	s_delay_alu instid0(VALU_DEP_1) | instskip(NEXT) | instid1(VALU_DEP_1)
	v_max_i32_e32 v0, v2, v0
	v_mul_u64_e32 v[4:5], s[6:7], v[0:1]
	s_delay_alu instid0(VALU_DEP_1) | instskip(NEXT) | instid1(VALU_DEP_1)
	v_mul_lo_u32 v3, v5, s47
	v_dual_sub_nc_u32 v0, v0, v3 :: v_dual_add_nc_u32 v3, 1, v5
	s_delay_alu instid0(VALU_DEP_1) | instskip(NEXT) | instid1(VALU_DEP_2)
	v_cmp_le_u32_e32 vcc_lo, s47, v0
	v_dual_cndmask_b32 v3, v5, v3, vcc_lo :: v_dual_ashrrev_i32 v5, 31, v2
	v_subrev_nc_u32_e32 v4, s47, v0
	s_delay_alu instid0(VALU_DEP_1) | instskip(NEXT) | instid1(VALU_DEP_1)
	v_dual_cndmask_b32 v0, v0, v4, vcc_lo :: v_dual_add_nc_u32 v4, 1, v3
	v_cmp_le_u32_e32 vcc_lo, s47, v0
	s_delay_alu instid0(VALU_DEP_2) | instskip(NEXT) | instid1(VALU_DEP_1)
	v_dual_cndmask_b32 v0, v3, v4, vcc_lo :: v_dual_bitop2_b32 v5, s46, v5 bitop3:0x14
	v_xor_b32_e32 v0, v0, v5
	s_delay_alu instid0(VALU_DEP_1) | instskip(NEXT) | instid1(VALU_DEP_1)
	v_sub_nc_u32_e32 v3, v0, v5
	v_sub_nc_u32_e32 v0, 0, v3
	s_delay_alu instid0(VALU_DEP_1) | instskip(NEXT) | instid1(VALU_DEP_1)
	v_max_i32_e32 v0, v3, v0
	v_mul_u64_e32 v[4:5], s[34:35], v[0:1]
	s_delay_alu instid0(VALU_DEP_1) | instskip(NEXT) | instid1(VALU_DEP_1)
	v_mul_lo_u32 v4, v5, s49
	v_dual_sub_nc_u32 v0, v0, v4 :: v_dual_add_nc_u32 v4, 1, v5
	s_delay_alu instid0(VALU_DEP_1) | instskip(SKIP_1) | instid1(VALU_DEP_2)
	v_subrev_nc_u32_e32 v6, s49, v0
	v_cmp_le_u32_e32 vcc_lo, s49, v0
	v_dual_cndmask_b32 v4, v5, v4, vcc_lo :: v_dual_cndmask_b32 v0, v0, v6, vcc_lo
	s_delay_alu instid0(VALU_DEP_1) | instskip(NEXT) | instid1(VALU_DEP_2)
	v_dual_ashrrev_i32 v5, 31, v3 :: v_dual_add_nc_u32 v6, 1, v4
	v_cmp_le_u32_e32 vcc_lo, s49, v0
	s_delay_alu instid0(VALU_DEP_2) | instskip(NEXT) | instid1(VALU_DEP_1)
	v_dual_cndmask_b32 v0, v4, v6, vcc_lo :: v_dual_bitop2_b32 v7, s48, v5 bitop3:0x14
	v_xor_b32_e32 v8, v0, v7
	s_delay_alu instid0(VALU_DEP_1) | instskip(NEXT) | instid1(VALU_DEP_1)
	v_sub_nc_u32_e32 v14, v8, v7
	v_sub_nc_u32_e32 v0, 0, v14
	s_delay_alu instid0(VALU_DEP_1) | instskip(NEXT) | instid1(VALU_DEP_1)
	v_max_i32_e32 v0, v14, v0
	v_mul_u64_e32 v[4:5], s[36:37], v[0:1]
	s_delay_alu instid0(VALU_DEP_1) | instskip(NEXT) | instid1(VALU_DEP_1)
	v_mul_lo_u32 v4, v5, s51
	v_dual_sub_nc_u32 v0, v0, v4 :: v_dual_add_nc_u32 v4, 1, v5
	s_delay_alu instid0(VALU_DEP_1) | instskip(NEXT) | instid1(VALU_DEP_2)
	v_cmp_le_u32_e32 vcc_lo, s51, v0
	v_cndmask_b32_e32 v4, v5, v4, vcc_lo
	v_subrev_nc_u32_e32 v6, s51, v0
	v_ashrrev_i32_e32 v5, 31, v14
	s_delay_alu instid0(VALU_DEP_2) | instskip(NEXT) | instid1(VALU_DEP_1)
	v_dual_cndmask_b32 v0, v0, v6, vcc_lo :: v_dual_add_nc_u32 v6, 1, v4
	v_cmp_le_u32_e32 vcc_lo, s51, v0
	s_delay_alu instid0(VALU_DEP_2) | instskip(NEXT) | instid1(VALU_DEP_1)
	v_dual_cndmask_b32 v0, v4, v6, vcc_lo :: v_dual_bitop2_b32 v9, s50, v5 bitop3:0x14
	v_xor_b32_e32 v6, v0, v9
	s_delay_alu instid0(VALU_DEP_1) | instskip(NEXT) | instid1(VALU_DEP_1)
	v_sub_nc_u32_e32 v10, v6, v9
	v_dual_sub_nc_u32 v0, 0, v10 :: v_dual_add_nc_u32 v6, v6, v7
	s_delay_alu instid0(VALU_DEP_1) | instskip(NEXT) | instid1(VALU_DEP_1)
	v_max_i32_e32 v0, v10, v0
	v_mul_u64_e32 v[4:5], s[38:39], v[0:1]
	s_delay_alu instid0(VALU_DEP_1) | instskip(NEXT) | instid1(VALU_DEP_1)
	v_mul_lo_u32 v4, v5, s52
	v_dual_sub_nc_u32 v0, v0, v4 :: v_dual_add_nc_u32 v4, 1, v5
	v_mul_lo_u32 v17, v10, s20
	s_delay_alu instid0(VALU_DEP_2) | instskip(SKIP_1) | instid1(VALU_DEP_4)
	v_subrev_nc_u32_e32 v11, s52, v0
	v_cmp_le_u32_e32 vcc_lo, s52, v0
	v_dual_cndmask_b32 v4, v5, v4 :: v_dual_ashrrev_i32 v5, 31, v10
	s_delay_alu instid0(VALU_DEP_1) | instskip(NEXT) | instid1(VALU_DEP_1)
	v_dual_cndmask_b32 v0, v0, v11 :: v_dual_add_nc_u32 v11, 1, v4
	v_cmp_le_u32_e32 vcc_lo, s52, v0
	s_delay_alu instid0(VALU_DEP_2) | instskip(NEXT) | instid1(VALU_DEP_1)
	v_dual_cndmask_b32 v0, v4, v11, vcc_lo :: v_dual_bitop2_b32 v5, s58, v5 bitop3:0x14
	v_xor_b32_e32 v0, v0, v5
	s_delay_alu instid0(VALU_DEP_1) | instskip(NEXT) | instid1(VALU_DEP_1)
	v_sub_nc_u32_e32 v11, v0, v5
	v_sub_nc_u32_e32 v0, 0, v11
	s_delay_alu instid0(VALU_DEP_1) | instskip(NEXT) | instid1(VALU_DEP_1)
	v_max_i32_e32 v0, v11, v0
	v_mul_u64_e32 v[4:5], s[40:41], v[0:1]
	s_delay_alu instid0(VALU_DEP_1) | instskip(NEXT) | instid1(VALU_DEP_1)
	v_mul_lo_u32 v4, v5, s53
	v_dual_sub_nc_u32 v0, v0, v4 :: v_dual_add_nc_u32 v4, 1, v5
	s_delay_alu instid0(VALU_DEP_1) | instskip(SKIP_1) | instid1(VALU_DEP_3)
	v_subrev_nc_u32_e32 v12, s53, v0
	v_cmp_le_u32_e32 vcc_lo, s53, v0
	v_dual_cndmask_b32 v4, v5, v4 :: v_dual_ashrrev_i32 v5, 31, v11
	s_delay_alu instid0(VALU_DEP_1) | instskip(NEXT) | instid1(VALU_DEP_2)
	v_dual_cndmask_b32 v0, v0, v12, vcc_lo :: v_dual_bitop2_b32 v5, s59, v5 bitop3:0x14
	v_add_nc_u32_e32 v12, 1, v4
	s_delay_alu instid0(VALU_DEP_2) | instskip(NEXT) | instid1(VALU_DEP_2)
	v_cmp_le_u32_e32 vcc_lo, s53, v0
	v_cndmask_b32_e32 v0, v4, v12, vcc_lo
	s_delay_alu instid0(VALU_DEP_1) | instskip(NEXT) | instid1(VALU_DEP_1)
	v_xor_b32_e32 v0, v0, v5
	v_sub_nc_u32_e32 v15, v0, v5
	s_delay_alu instid0(VALU_DEP_1) | instskip(NEXT) | instid1(VALU_DEP_1)
	v_sub_nc_u32_e32 v0, 0, v15
	v_max_i32_e32 v0, v15, v0
	s_delay_alu instid0(VALU_DEP_1) | instskip(NEXT) | instid1(VALU_DEP_1)
	v_mul_u64_e32 v[4:5], s[42:43], v[0:1]
	v_mul_lo_u32 v4, v5, s57
	s_delay_alu instid0(VALU_DEP_1) | instskip(SKIP_2) | instid1(VALU_DEP_3)
	v_dual_add_nc_u32 v12, 1, v5 :: v_dual_sub_nc_u32 v0, v0, v4
	v_mul_lo_u32 v4, v11, s12
	v_mul_lo_u32 v13, v15, s11
	v_subrev_nc_u32_e32 v16, s57, v0
	v_cmp_le_u32_e32 vcc_lo, s57, v0
	v_cndmask_b32_e32 v5, v5, v12, vcc_lo
	s_delay_alu instid0(VALU_DEP_3) | instskip(SKIP_1) | instid1(VALU_DEP_3)
	v_cndmask_b32_e32 v0, v0, v16, vcc_lo
	v_dual_sub_nc_u32 v18, v10, v4 :: v_dual_sub_nc_u32 v19, v11, v13
	v_dual_ashrrev_i32 v12, 31, v15 :: v_dual_add_nc_u32 v16, 1, v5
	s_delay_alu instid0(VALU_DEP_3) | instskip(NEXT) | instid1(VALU_DEP_2)
	v_cmp_le_u32_e32 vcc_lo, s57, v0
	v_xor_b32_e32 v4, s19, v12
	s_delay_alu instid0(VALU_DEP_3) | instskip(SKIP_1) | instid1(VALU_DEP_2)
	v_cndmask_b32_e32 v0, v5, v16, vcc_lo
	v_mad_u32 v5, v19, s12, v18
	v_dual_sub_nc_u32 v16, v14, v17 :: v_dual_bitop2_b32 v0, v0, v4 bitop3:0x14
	s_delay_alu instid0(VALU_DEP_1) | instskip(NEXT) | instid1(VALU_DEP_3)
	v_sub_nc_u32_e32 v0, v0, v4
	v_lshl_add_u32 v4, v5, 1, v7
	v_mul_lo_u32 v5, s61, v15
	s_delay_alu instid0(VALU_DEP_2) | instskip(NEXT) | instid1(VALU_DEP_1)
	v_sub_nc_u32_e32 v4, v4, v8
	v_mul_lo_u32 v11, s60, v4
	s_delay_alu instid0(VALU_DEP_3) | instskip(NEXT) | instid1(VALU_DEP_1)
	v_sub_nc_u32_e32 v5, v6, v5
	v_sub_nc_u32_e32 v7, v5, v9
	v_mad_u32 v0, v16, s21, v0
	s_delay_alu instid0(VALU_DEP_2) | instskip(SKIP_1) | instid1(VALU_DEP_2)
	v_dual_add_nc_u32 v6, v2, v11 :: v_dual_sub_nc_u32 v9, v7, v8
	v_add3_u32 v12, v11, s60, v2
	v_ashrrev_i32_e32 v7, 31, v6
	s_delay_alu instid0(VALU_DEP_3) | instskip(SKIP_2) | instid1(VALU_DEP_2)
	v_mad_u32 v10, s60, v9, v2
	v_mul_lo_u32 v4, s56, v0
	v_mul_lo_u32 v8, s55, v0
	v_dual_ashrrev_i32 v11, 31, v10 :: v_dual_ashrrev_i32 v5, 31, v4
	s_delay_alu instid0(VALU_DEP_2) | instskip(NEXT) | instid1(VALU_DEP_2)
	v_ashrrev_i32_e32 v9, 31, v8
	v_lshl_add_u64 v[4:5], v[4:5], 2, s[26:27]
	s_delay_alu instid0(VALU_DEP_1)
	v_lshl_add_u64 v[6:7], v[6:7], 2, v[4:5]
	global_load_b32 v0, v[6:7], off
	v_ashrrev_i32_e32 v13, 31, v12
	s_wait_xcnt 0x0
	v_lshl_add_u64 v[6:7], v[8:9], 2, s[28:29]
	v_mul_lo_u32 v8, v19, s17
	v_mul_lo_u32 v9, v18, s18
	v_lshl_add_u64 v[4:5], v[12:13], 2, v[4:5]
	s_delay_alu instid0(VALU_DEP_4)
	v_lshl_add_u64 v[6:7], v[10:11], 2, v[6:7]
	global_load_b32 v4, v[4:5], off
	global_load_b32 v5, v2, s[24:25] scale_offset
	global_load_b32 v6, v[6:7], off
	s_wait_xcnt 0x0
	v_mul_lo_u32 v7, v14, s22
	v_subrev_nc_u32_e32 v8, s13, v8
	s_delay_alu instid0(VALU_DEP_2) | instskip(SKIP_1) | instid1(VALU_DEP_2)
	v_sub_nc_u32_e32 v7, v3, v7
	v_mad_u32 v3, s23, v3, v2
	v_mad_u32 v7, v7, s15, v8
	v_subrev_nc_u32_e32 v8, s14, v9
	s_delay_alu instid0(VALU_DEP_1) | instskip(SKIP_1) | instid1(VALU_DEP_4)
	v_mad_u32 v3, v3, s16, v8
	v_mad_u32 v8, v16, s8, v15
	v_cvt_f32_i32_e32 v7, v7
	s_wait_loadcnt 0x3
	s_delay_alu instid0(VALU_DEP_1) | instskip(NEXT) | instid1(VALU_DEP_4)
	v_add_f32_e32 v9, v0, v7
	v_cvt_f32_i32_e32 v0, v3
	s_delay_alu instid0(VALU_DEP_2)
	v_cvt_i32_f32_e32 v10, v9
	v_cmp_le_f32_e64 s1, s44, v9
	v_cmp_ge_f32_e32 vcc_lo, -1.0, v9
	s_wait_loadcnt 0x2
	v_add_f32_e32 v3, v4, v0
	v_mad_u32 v14, v8, s9, v10
	s_wait_loadcnt 0x0
	v_mul_f32_e32 v0, v6, v5
	v_floor_f32_e32 v5, v9
	v_add_nc_u32_e32 v15, -1, v10
	v_floor_f32_e32 v6, v3
	v_cvt_i32_f32_e32 v4, v3
	v_cmp_ge_f32_e64 s2, -1.0, v3
	v_cvt_i32_f32_e32 v11, v5
	v_cmp_lt_i32_e64 s3, 1, v10
	v_cvt_i32_f32_e32 v5, v6
	v_add_nc_u32_e32 v16, -2, v10
	s_delay_alu instid0(VALU_DEP_4) | instskip(SKIP_1) | instid1(VALU_DEP_4)
	v_dual_add_nc_u32 v7, -2, v14 :: v_dual_add_nc_u32 v12, 1, v11
	v_cmp_le_f32_e64 s0, s45, v3
	v_add_nc_u32_e32 v6, 1, v5
	s_delay_alu instid0(VALU_DEP_4) | instskip(NEXT) | instid1(VALU_DEP_4)
	v_cmp_gt_i32_e64 s4, s9, v16
	v_mad_u32 v18, v7, s10, v4
	v_dual_add_f32 v7, 1.0, v3 :: v_dual_add_f32 v13, 1.0, v9
	v_add_nc_u32_e32 v8, -2, v4
	v_cvt_f32_u32_e32 v17, v15
	s_or_b32 s63, s2, s1
	s_and_b32 s1, s3, s4
	s_delay_alu instid0(SALU_CYCLE_1)
	s_and_saveexec_b32 s64, s1
	s_cbranch_execz .LBB1_30
; %bb.5:                                ;   in Loop: Header=BB1_4 Depth=1
	v_cvt_f32_u32_e32 v20, v16
	v_cmp_gt_i32_e64 s3, 2, v4
	v_cmp_le_i32_e64 s4, s10, v8
	v_cmp_eq_u32_e64 s1, v16, v11
	v_cmp_eq_u32_e64 s2, v16, v12
	v_sub_f32_e32 v19, v9, v20
	v_sub_f32_e32 v16, v13, v20
	s_or_b32 s3, s3, s4
	s_delay_alu instid0(VALU_DEP_2) | instskip(SKIP_2) | instid1(SALU_CYCLE_1)
	v_cmp_nlt_f32_e64 s65, |v19|, 1.0
	v_sub_f32_e32 v19, v17, v9
	s_nor_b32 s3, s3, s65
	s_and_saveexec_b32 s66, s3
	s_cbranch_execz .LBB1_10
; %bb.6:                                ;   in Loop: Header=BB1_4 Depth=1
	v_cvt_f32_u32_e32 v20, v8
	s_delay_alu instid0(VALU_DEP_1) | instskip(NEXT) | instid1(VALU_DEP_1)
	v_sub_f32_e32 v21, v3, v20
	v_cmp_lt_f32_e64 s3, |v21|, 1.0
	s_and_b32 exec_lo, exec_lo, s3
	s_cbranch_execz .LBB1_10
; %bb.7:                                ;   in Loop: Header=BB1_4 Depth=1
	v_mov_b32_e32 v21, 0
	s_or_b32 s3, vcc_lo, s63
	s_delay_alu instid0(SALU_CYCLE_1) | instskip(NEXT) | instid1(SALU_CYCLE_1)
	s_nor_b32 s3, s3, s0
	s_and_saveexec_b32 s67, s3
	s_cbranch_execz .LBB1_9
; %bb.8:                                ;   in Loop: Header=BB1_4 Depth=1
	v_cmp_eq_u32_e64 s3, v8, v5
	v_cmp_eq_u32_e64 s4, v8, v6
	v_sub_f32_e32 v20, v7, v20
	s_and_b32 s5, s1, s3
	v_add_nc_u32_e32 v21, -1, v4
	s_and_b32 s3, s2, s3
	s_delay_alu instid0(VALU_DEP_2) | instskip(NEXT) | instid1(VALU_DEP_2)
	v_dual_mul_f32 v23, v19, v20 :: v_dual_mul_f32 v20, v16, v20
	v_cvt_f32_u32_e32 v21, v21
	s_delay_alu instid0(VALU_DEP_1) | instskip(NEXT) | instid1(VALU_DEP_1)
	v_sub_f32_e32 v21, v21, v3
	v_mul_f32_e32 v22, v19, v21
	s_delay_alu instid0(VALU_DEP_1)
	v_cndmask_b32_e64 v22, 0, v22, s5
	s_and_b32 s5, s1, s4
	s_delay_alu instid0(VALU_DEP_1) | instid1(SALU_CYCLE_1)
	v_dual_mul_f32 v21, v16, v21 :: v_dual_cndmask_b32 v22, v22, v23, s5
	s_delay_alu instid0(VALU_DEP_1)
	v_cndmask_b32_e64 v21, v22, v21, s3
	s_and_b32 s3, s2, s4
	s_delay_alu instid0(VALU_DEP_1) | instid1(SALU_CYCLE_1)
	v_cndmask_b32_e64 v21, v21, v20, s3
.LBB1_9:                                ;   in Loop: Header=BB1_4 Depth=1
	s_or_b32 exec_lo, exec_lo, s67
	s_delay_alu instid0(VALU_DEP_1)
	v_mul_f32_e32 v20, v0, v21
	global_atomic_add_f32 v18, v20, s[30:31] offset:-8 scale_offset scope:SCOPE_DEV
.LBB1_10:                               ;   in Loop: Header=BB1_4 Depth=1
	s_wait_xcnt 0x0
	s_or_b32 exec_lo, exec_lo, s66
	v_cmp_gt_i32_e64 s3, 1, v4
	v_cmp_lt_i32_e64 s4, s10, v4
	s_or_b32 s3, s3, s4
	s_delay_alu instid0(SALU_CYCLE_1) | instskip(NEXT) | instid1(SALU_CYCLE_1)
	s_nor_b32 s3, s3, s65
	s_and_saveexec_b32 s66, s3
	s_cbranch_execz .LBB1_15
; %bb.11:                               ;   in Loop: Header=BB1_4 Depth=1
	v_add_nc_u32_e32 v20, -1, v4
	s_delay_alu instid0(VALU_DEP_1) | instskip(NEXT) | instid1(VALU_DEP_1)
	v_cvt_f32_u32_e32 v21, v20
	v_sub_f32_e32 v22, v3, v21
	s_delay_alu instid0(VALU_DEP_1)
	v_cmp_lt_f32_e64 s3, |v22|, 1.0
	s_and_b32 exec_lo, exec_lo, s3
	s_cbranch_execz .LBB1_15
; %bb.12:                               ;   in Loop: Header=BB1_4 Depth=1
	v_mov_b32_e32 v22, 0
	s_or_b32 s3, vcc_lo, s63
	s_delay_alu instid0(SALU_CYCLE_1) | instskip(NEXT) | instid1(SALU_CYCLE_1)
	s_nor_b32 s3, s3, s0
	s_and_saveexec_b32 s67, s3
	s_cbranch_execz .LBB1_14
; %bb.13:                               ;   in Loop: Header=BB1_4 Depth=1
	v_cvt_f32_u32_e32 v22, v4
	v_cmp_eq_u32_e64 s3, v20, v5
	v_cmp_eq_u32_e64 s4, v20, v6
	s_delay_alu instid0(VALU_DEP_3) | instskip(SKIP_2) | instid1(VALU_DEP_1)
	v_dual_sub_f32 v21, v7, v21 :: v_dual_sub_f32 v22, v22, v3
	s_and_b32 s5, s1, s3
	s_and_b32 s3, s2, s3
	v_dual_mul_f32 v20, v19, v21 :: v_dual_mul_f32 v21, v16, v21
	s_delay_alu instid0(VALU_DEP_2) | instskip(NEXT) | instid1(VALU_DEP_1)
	v_dual_mul_f32 v23, v19, v22 :: v_dual_mul_f32 v22, v16, v22
	v_cndmask_b32_e64 v23, 0, v23, s5
	s_and_b32 s5, s1, s4
	s_delay_alu instid0(VALU_DEP_1) | instid1(SALU_CYCLE_1)
	v_cndmask_b32_e64 v20, v23, v20, s5
	s_delay_alu instid0(VALU_DEP_1)
	v_cndmask_b32_e64 v20, v20, v22, s3
	s_and_b32 s3, s2, s4
	s_delay_alu instid0(VALU_DEP_1) | instid1(SALU_CYCLE_1)
	v_cndmask_b32_e64 v22, v20, v21, s3
.LBB1_14:                               ;   in Loop: Header=BB1_4 Depth=1
	s_or_b32 exec_lo, exec_lo, s67
	s_delay_alu instid0(VALU_DEP_1)
	v_mul_f32_e32 v20, v0, v22
	global_atomic_add_f32 v18, v20, s[30:31] offset:-4 scale_offset scope:SCOPE_DEV
.LBB1_15:                               ;   in Loop: Header=BB1_4 Depth=1
	s_wait_xcnt 0x0
	s_or_b32 exec_lo, exec_lo, s66
	v_cmp_gt_i32_e64 s3, 0, v4
	v_cmp_le_i32_e64 s4, s10, v4
	s_or_b32 s3, s3, s4
	s_delay_alu instid0(SALU_CYCLE_1) | instskip(NEXT) | instid1(SALU_CYCLE_1)
	s_nor_b32 s3, s3, s65
	s_and_saveexec_b32 s66, s3
	s_cbranch_execz .LBB1_20
; %bb.16:                               ;   in Loop: Header=BB1_4 Depth=1
	v_cvt_f32_u32_e32 v20, v4
	s_delay_alu instid0(VALU_DEP_1) | instskip(NEXT) | instid1(VALU_DEP_1)
	v_sub_f32_e32 v21, v3, v20
	v_cmp_lt_f32_e64 s3, |v21|, 1.0
	s_and_b32 exec_lo, exec_lo, s3
	s_cbranch_execz .LBB1_20
; %bb.17:                               ;   in Loop: Header=BB1_4 Depth=1
	v_mov_b32_e32 v21, 0
	s_or_b32 s3, vcc_lo, s63
	s_delay_alu instid0(SALU_CYCLE_1) | instskip(NEXT) | instid1(SALU_CYCLE_1)
	s_nor_b32 s3, s3, s0
	s_and_saveexec_b32 s67, s3
	s_cbranch_execz .LBB1_19
; %bb.18:                               ;   in Loop: Header=BB1_4 Depth=1
	v_cmp_eq_u32_e64 s3, v4, v5
	v_cmp_eq_u32_e64 s4, v6, v4
	v_sub_f32_e32 v20, v7, v20
	s_and_b32 s5, s1, s3
	v_add_nc_u32_e32 v21, 1, v4
	s_and_b32 s3, s2, s3
	s_delay_alu instid0(VALU_DEP_2) | instskip(NEXT) | instid1(VALU_DEP_2)
	v_dual_mul_f32 v23, v19, v20 :: v_dual_mul_f32 v20, v16, v20
	v_cvt_f32_u32_e32 v21, v21
	s_delay_alu instid0(VALU_DEP_1) | instskip(NEXT) | instid1(VALU_DEP_1)
	v_sub_f32_e32 v21, v21, v3
	v_mul_f32_e32 v22, v19, v21
	s_delay_alu instid0(VALU_DEP_1)
	v_cndmask_b32_e64 v22, 0, v22, s5
	s_and_b32 s5, s1, s4
	s_delay_alu instid0(VALU_DEP_1) | instid1(SALU_CYCLE_1)
	v_dual_mul_f32 v21, v16, v21 :: v_dual_cndmask_b32 v22, v22, v23, s5
	s_delay_alu instid0(VALU_DEP_1)
	v_cndmask_b32_e64 v21, v22, v21, s3
	s_and_b32 s3, s2, s4
	s_delay_alu instid0(VALU_DEP_1) | instid1(SALU_CYCLE_1)
	v_cndmask_b32_e64 v21, v21, v20, s3
.LBB1_19:                               ;   in Loop: Header=BB1_4 Depth=1
	s_or_b32 exec_lo, exec_lo, s67
	s_delay_alu instid0(VALU_DEP_1)
	v_mul_f32_e32 v20, v0, v21
	global_atomic_add_f32 v18, v20, s[30:31] scale_offset scope:SCOPE_DEV
.LBB1_20:                               ;   in Loop: Header=BB1_4 Depth=1
	s_wait_xcnt 0x0
	s_or_b32 exec_lo, exec_lo, s66
	v_add_nc_u32_e32 v20, 1, v4
	v_cmp_gt_i32_e64 s3, -1, v4
	s_delay_alu instid0(VALU_DEP_2) | instskip(SKIP_1) | instid1(SALU_CYCLE_1)
	v_cmp_le_i32_e64 s4, s10, v20
	s_or_b32 s3, s3, s4
	s_nor_b32 s3, s3, s65
	s_delay_alu instid0(SALU_CYCLE_1)
	s_and_saveexec_b32 s66, s3
	s_cbranch_execz .LBB1_25
; %bb.21:                               ;   in Loop: Header=BB1_4 Depth=1
	v_cvt_f32_u32_e32 v21, v20
	s_delay_alu instid0(VALU_DEP_1) | instskip(NEXT) | instid1(VALU_DEP_1)
	v_sub_f32_e32 v22, v3, v21
	v_cmp_lt_f32_e64 s3, |v22|, 1.0
	s_and_b32 exec_lo, exec_lo, s3
	s_cbranch_execz .LBB1_25
; %bb.22:                               ;   in Loop: Header=BB1_4 Depth=1
	v_mov_b32_e32 v22, 0
	s_or_b32 s3, vcc_lo, s63
	s_delay_alu instid0(SALU_CYCLE_1) | instskip(NEXT) | instid1(SALU_CYCLE_1)
	s_nor_b32 s3, s3, s0
	s_and_saveexec_b32 s67, s3
	s_cbranch_execz .LBB1_24
; %bb.23:                               ;   in Loop: Header=BB1_4 Depth=1
	v_dual_sub_f32 v21, v7, v21 :: v_dual_add_nc_u32 v22, 2, v4
	v_cmp_eq_u32_e64 s3, v20, v5
	v_cmp_eq_u32_e64 s4, v4, v5
	s_delay_alu instid0(VALU_DEP_3) | instskip(NEXT) | instid1(VALU_DEP_4)
	v_cvt_f32_u32_e32 v22, v22
	v_mul_f32_e32 v23, v19, v21
	s_and_b32 s5, s1, s3
	s_and_b32 s3, s2, s3
	s_delay_alu instid0(VALU_DEP_2) | instskip(NEXT) | instid1(VALU_DEP_1)
	v_dual_mul_f32 v21, v16, v21 :: v_dual_sub_f32 v22, v22, v3
	v_dual_mul_f32 v20, v19, v22 :: v_dual_mul_f32 v22, v16, v22
	s_delay_alu instid0(VALU_DEP_1)
	v_cndmask_b32_e64 v20, 0, v20, s5
	s_and_b32 s5, s1, s4
	s_delay_alu instid0(VALU_DEP_1) | instid1(SALU_CYCLE_1)
	v_cndmask_b32_e64 v20, v20, v23, s5
	s_delay_alu instid0(VALU_DEP_1)
	v_cndmask_b32_e64 v20, v20, v22, s3
	s_and_b32 s3, s2, s4
	s_delay_alu instid0(VALU_DEP_1) | instid1(SALU_CYCLE_1)
	v_cndmask_b32_e64 v22, v20, v21, s3
.LBB1_24:                               ;   in Loop: Header=BB1_4 Depth=1
	s_or_b32 exec_lo, exec_lo, s67
	s_delay_alu instid0(VALU_DEP_1)
	v_mul_f32_e32 v20, v0, v22
	global_atomic_add_f32 v18, v20, s[30:31] offset:4 scale_offset scope:SCOPE_DEV
.LBB1_25:                               ;   in Loop: Header=BB1_4 Depth=1
	s_wait_xcnt 0x0
	s_or_b32 exec_lo, exec_lo, s66
	v_add_nc_u32_e32 v20, 2, v4
	v_cmp_gt_i32_e64 s3, -2, v4
	s_delay_alu instid0(VALU_DEP_2) | instskip(SKIP_1) | instid1(SALU_CYCLE_1)
	v_cmp_le_i32_e64 s4, s10, v20
	s_or_b32 s3, s3, s4
	s_nor_b32 s3, s3, s65
	s_delay_alu instid0(SALU_CYCLE_1)
	s_and_b32 exec_lo, exec_lo, s3
	s_cbranch_execz .LBB1_30
; %bb.26:                               ;   in Loop: Header=BB1_4 Depth=1
	v_cvt_f32_u32_e32 v21, v20
	s_delay_alu instid0(VALU_DEP_1) | instskip(NEXT) | instid1(VALU_DEP_1)
	v_sub_f32_e32 v22, v3, v21
	v_cmp_lt_f32_e64 s3, |v22|, 1.0
	s_and_b32 exec_lo, exec_lo, s3
	s_cbranch_execz .LBB1_30
; %bb.27:                               ;   in Loop: Header=BB1_4 Depth=1
	v_mov_b32_e32 v22, 0
	s_or_b32 s3, vcc_lo, s63
	s_delay_alu instid0(SALU_CYCLE_1) | instskip(NEXT) | instid1(SALU_CYCLE_1)
	s_nor_b32 s3, s3, s0
	s_and_saveexec_b32 s65, s3
	s_cbranch_execz .LBB1_29
; %bb.28:                               ;   in Loop: Header=BB1_4 Depth=1
	v_dual_sub_f32 v21, v7, v21 :: v_dual_add_nc_u32 v22, 3, v4
	v_cmp_eq_u32_e64 s3, v20, v5
	v_cmp_eq_u32_e64 s4, v20, v6
	s_delay_alu instid0(VALU_DEP_3) | instskip(SKIP_2) | instid1(VALU_DEP_1)
	v_cvt_f32_u32_e32 v22, v22
	s_and_b32 s5, s1, s3
	s_and_b32 s1, s1, s4
	v_sub_f32_e32 v22, v22, v3
	s_delay_alu instid0(VALU_DEP_1) | instskip(SKIP_1) | instid1(VALU_DEP_2)
	v_dual_mul_f32 v23, v19, v22 :: v_dual_mul_f32 v19, v19, v21
	v_dual_mul_f32 v22, v16, v22 :: v_dual_mul_f32 v16, v16, v21
	v_cndmask_b32_e64 v20, 0, v23, s5
	s_delay_alu instid0(VALU_DEP_1)
	v_cndmask_b32_e64 v19, v20, v19, s1
	s_and_b32 s1, s2, s3
	s_delay_alu instid0(VALU_DEP_1) | instid1(SALU_CYCLE_1)
	v_cndmask_b32_e64 v19, v19, v22, s1
	s_and_b32 s1, s2, s4
	s_delay_alu instid0(VALU_DEP_1) | instid1(SALU_CYCLE_1)
	v_cndmask_b32_e64 v22, v19, v16, s1
.LBB1_29:                               ;   in Loop: Header=BB1_4 Depth=1
	s_or_b32 exec_lo, exec_lo, s65
	s_delay_alu instid0(VALU_DEP_1)
	v_mul_f32_e32 v16, v0, v22
	global_atomic_add_f32 v18, v16, s[30:31] offset:8 scale_offset scope:SCOPE_DEV
.LBB1_30:                               ;   in Loop: Header=BB1_4 Depth=1
	s_wait_xcnt 0x0
	s_or_b32 exec_lo, exec_lo, s64
	v_cmp_lt_i32_e64 s1, 0, v10
	v_cmp_ge_i32_e64 s2, s9, v10
	v_cvt_f32_u32_e32 v16, v10
	s_and_b32 s1, s1, s2
	s_delay_alu instid0(SALU_CYCLE_1)
	s_and_saveexec_b32 s64, s1
	s_cbranch_execz .LBB1_56
; %bb.31:                               ;   in Loop: Header=BB1_4 Depth=1
	v_dual_sub_f32 v19, v9, v17 :: v_dual_add_nc_u32 v18, s10, v18
	v_cmp_gt_i32_e64 s3, 2, v4
	v_cmp_le_i32_e64 s4, s10, v8
	v_cmp_eq_u32_e64 s1, v15, v11
	s_delay_alu instid0(VALU_DEP_4) | instskip(SKIP_4) | instid1(SALU_CYCLE_1)
	v_cmp_nlt_f32_e64 s65, |v19|, 1.0
	v_sub_f32_e32 v19, v16, v9
	v_cmp_eq_u32_e64 s2, v15, v12
	v_sub_f32_e32 v15, v13, v17
	s_or_b32 s3, s3, s4
	s_nor_b32 s3, s3, s65
	s_delay_alu instid0(SALU_CYCLE_1)
	s_and_saveexec_b32 s66, s3
	s_cbranch_execz .LBB1_36
; %bb.32:                               ;   in Loop: Header=BB1_4 Depth=1
	v_cvt_f32_u32_e32 v17, v8
	s_delay_alu instid0(VALU_DEP_1) | instskip(NEXT) | instid1(VALU_DEP_1)
	v_sub_f32_e32 v20, v3, v17
	v_cmp_lt_f32_e64 s3, |v20|, 1.0
	s_and_b32 exec_lo, exec_lo, s3
	s_cbranch_execz .LBB1_36
; %bb.33:                               ;   in Loop: Header=BB1_4 Depth=1
	v_mov_b32_e32 v20, 0
	s_or_b32 s3, vcc_lo, s63
	s_delay_alu instid0(SALU_CYCLE_1) | instskip(NEXT) | instid1(SALU_CYCLE_1)
	s_nor_b32 s3, s3, s0
	s_and_saveexec_b32 s67, s3
	s_cbranch_execz .LBB1_35
; %bb.34:                               ;   in Loop: Header=BB1_4 Depth=1
	v_dual_sub_f32 v17, v7, v17 :: v_dual_add_nc_u32 v20, -1, v4
	v_cmp_eq_u32_e64 s3, v8, v5
	v_cmp_eq_u32_e64 s4, v8, v6
	s_delay_alu instid0(VALU_DEP_3) | instskip(NEXT) | instid1(VALU_DEP_4)
	v_cvt_f32_u32_e32 v20, v20
	v_mul_f32_e32 v22, v19, v17
	v_mul_f32_e32 v17, v15, v17
	s_and_b32 s5, s1, s3
	s_and_b32 s3, s2, s3
	v_sub_f32_e32 v20, v20, v3
	s_delay_alu instid0(VALU_DEP_1) | instskip(NEXT) | instid1(VALU_DEP_1)
	v_mul_f32_e32 v21, v19, v20
	v_dual_mul_f32 v20, v15, v20 :: v_dual_cndmask_b32 v21, 0, v21, s5
	s_and_b32 s5, s1, s4
	s_delay_alu instid0(VALU_DEP_1) | instid1(SALU_CYCLE_1)
	v_cndmask_b32_e64 v21, v21, v22, s5
	s_delay_alu instid0(VALU_DEP_1)
	v_cndmask_b32_e64 v20, v21, v20, s3
	s_and_b32 s3, s2, s4
	s_delay_alu instid0(VALU_DEP_1) | instid1(SALU_CYCLE_1)
	v_cndmask_b32_e64 v20, v20, v17, s3
.LBB1_35:                               ;   in Loop: Header=BB1_4 Depth=1
	s_or_b32 exec_lo, exec_lo, s67
	s_delay_alu instid0(VALU_DEP_1)
	v_mul_f32_e32 v17, v0, v20
	global_atomic_add_f32 v18, v17, s[30:31] offset:-8 scale_offset scope:SCOPE_DEV
.LBB1_36:                               ;   in Loop: Header=BB1_4 Depth=1
	s_wait_xcnt 0x0
	s_or_b32 exec_lo, exec_lo, s66
	v_cmp_gt_i32_e64 s3, 1, v4
	v_cmp_lt_i32_e64 s4, s10, v4
	s_or_b32 s3, s3, s4
	s_delay_alu instid0(SALU_CYCLE_1) | instskip(NEXT) | instid1(SALU_CYCLE_1)
	s_nor_b32 s3, s3, s65
	s_and_saveexec_b32 s66, s3
	s_cbranch_execz .LBB1_41
; %bb.37:                               ;   in Loop: Header=BB1_4 Depth=1
	v_add_nc_u32_e32 v17, -1, v4
	s_delay_alu instid0(VALU_DEP_1) | instskip(NEXT) | instid1(VALU_DEP_1)
	v_cvt_f32_u32_e32 v20, v17
	v_sub_f32_e32 v21, v3, v20
	s_delay_alu instid0(VALU_DEP_1)
	v_cmp_lt_f32_e64 s3, |v21|, 1.0
	s_and_b32 exec_lo, exec_lo, s3
	s_cbranch_execz .LBB1_41
; %bb.38:                               ;   in Loop: Header=BB1_4 Depth=1
	v_mov_b32_e32 v21, 0
	s_or_b32 s3, vcc_lo, s63
	s_delay_alu instid0(SALU_CYCLE_1) | instskip(NEXT) | instid1(SALU_CYCLE_1)
	s_nor_b32 s3, s3, s0
	s_and_saveexec_b32 s67, s3
	s_cbranch_execz .LBB1_40
; %bb.39:                               ;   in Loop: Header=BB1_4 Depth=1
	v_cvt_f32_u32_e32 v21, v4
	v_cmp_eq_u32_e64 s3, v17, v5
	v_cmp_eq_u32_e64 s4, v17, v6
	s_delay_alu instid0(VALU_DEP_3) | instskip(SKIP_2) | instid1(VALU_DEP_1)
	v_dual_sub_f32 v20, v7, v20 :: v_dual_sub_f32 v21, v21, v3
	s_and_b32 s5, s1, s3
	s_and_b32 s3, s2, s3
	v_mul_f32_e32 v17, v19, v20
	v_mul_f32_e32 v20, v15, v20
	;; [unrolled: 1-line block ×3, first 2 shown]
	s_delay_alu instid0(VALU_DEP_1)
	v_dual_mul_f32 v21, v15, v21 :: v_dual_cndmask_b32 v22, 0, v22, s5
	s_and_b32 s5, s1, s4
	s_delay_alu instid0(VALU_DEP_1) | instid1(SALU_CYCLE_1)
	v_cndmask_b32_e64 v17, v22, v17, s5
	s_delay_alu instid0(VALU_DEP_1)
	v_cndmask_b32_e64 v17, v17, v21, s3
	s_and_b32 s3, s2, s4
	s_delay_alu instid0(VALU_DEP_1) | instid1(SALU_CYCLE_1)
	v_cndmask_b32_e64 v21, v17, v20, s3
.LBB1_40:                               ;   in Loop: Header=BB1_4 Depth=1
	s_or_b32 exec_lo, exec_lo, s67
	s_delay_alu instid0(VALU_DEP_1)
	v_mul_f32_e32 v17, v0, v21
	global_atomic_add_f32 v18, v17, s[30:31] offset:-4 scale_offset scope:SCOPE_DEV
.LBB1_41:                               ;   in Loop: Header=BB1_4 Depth=1
	s_wait_xcnt 0x0
	s_or_b32 exec_lo, exec_lo, s66
	v_cmp_gt_i32_e64 s3, 0, v4
	v_cmp_le_i32_e64 s4, s10, v4
	s_or_b32 s3, s3, s4
	s_delay_alu instid0(SALU_CYCLE_1) | instskip(NEXT) | instid1(SALU_CYCLE_1)
	s_nor_b32 s3, s3, s65
	s_and_saveexec_b32 s66, s3
	s_cbranch_execz .LBB1_46
; %bb.42:                               ;   in Loop: Header=BB1_4 Depth=1
	v_cvt_f32_u32_e32 v17, v4
	s_delay_alu instid0(VALU_DEP_1) | instskip(NEXT) | instid1(VALU_DEP_1)
	v_sub_f32_e32 v20, v3, v17
	v_cmp_lt_f32_e64 s3, |v20|, 1.0
	s_and_b32 exec_lo, exec_lo, s3
	s_cbranch_execz .LBB1_46
; %bb.43:                               ;   in Loop: Header=BB1_4 Depth=1
	v_mov_b32_e32 v20, 0
	s_or_b32 s3, vcc_lo, s63
	s_delay_alu instid0(SALU_CYCLE_1) | instskip(NEXT) | instid1(SALU_CYCLE_1)
	s_nor_b32 s3, s3, s0
	s_and_saveexec_b32 s67, s3
	s_cbranch_execz .LBB1_45
; %bb.44:                               ;   in Loop: Header=BB1_4 Depth=1
	v_dual_sub_f32 v17, v7, v17 :: v_dual_add_nc_u32 v20, 1, v4
	v_cmp_eq_u32_e64 s3, v4, v5
	v_cmp_eq_u32_e64 s4, v6, v4
	s_delay_alu instid0(VALU_DEP_3) | instskip(NEXT) | instid1(VALU_DEP_4)
	v_cvt_f32_u32_e32 v20, v20
	v_mul_f32_e32 v22, v19, v17
	v_mul_f32_e32 v17, v15, v17
	s_and_b32 s5, s1, s3
	s_and_b32 s3, s2, s3
	v_sub_f32_e32 v20, v20, v3
	s_delay_alu instid0(VALU_DEP_1) | instskip(NEXT) | instid1(VALU_DEP_1)
	v_mul_f32_e32 v21, v19, v20
	v_dual_mul_f32 v20, v15, v20 :: v_dual_cndmask_b32 v21, 0, v21, s5
	s_and_b32 s5, s1, s4
	s_delay_alu instid0(VALU_DEP_1) | instid1(SALU_CYCLE_1)
	v_cndmask_b32_e64 v21, v21, v22, s5
	s_delay_alu instid0(VALU_DEP_1)
	v_cndmask_b32_e64 v20, v21, v20, s3
	s_and_b32 s3, s2, s4
	s_delay_alu instid0(VALU_DEP_1) | instid1(SALU_CYCLE_1)
	v_cndmask_b32_e64 v20, v20, v17, s3
.LBB1_45:                               ;   in Loop: Header=BB1_4 Depth=1
	s_or_b32 exec_lo, exec_lo, s67
	s_delay_alu instid0(VALU_DEP_1)
	v_mul_f32_e32 v17, v0, v20
	global_atomic_add_f32 v18, v17, s[30:31] scale_offset scope:SCOPE_DEV
.LBB1_46:                               ;   in Loop: Header=BB1_4 Depth=1
	s_wait_xcnt 0x0
	s_or_b32 exec_lo, exec_lo, s66
	v_add_nc_u32_e32 v17, 1, v4
	v_cmp_gt_i32_e64 s3, -1, v4
	s_delay_alu instid0(VALU_DEP_2) | instskip(SKIP_1) | instid1(SALU_CYCLE_1)
	v_cmp_le_i32_e64 s4, s10, v17
	s_or_b32 s3, s3, s4
	s_nor_b32 s3, s3, s65
	s_delay_alu instid0(SALU_CYCLE_1)
	s_and_saveexec_b32 s66, s3
	s_cbranch_execz .LBB1_51
; %bb.47:                               ;   in Loop: Header=BB1_4 Depth=1
	v_cvt_f32_u32_e32 v20, v17
	s_delay_alu instid0(VALU_DEP_1) | instskip(NEXT) | instid1(VALU_DEP_1)
	v_sub_f32_e32 v21, v3, v20
	v_cmp_lt_f32_e64 s3, |v21|, 1.0
	s_and_b32 exec_lo, exec_lo, s3
	s_cbranch_execz .LBB1_51
; %bb.48:                               ;   in Loop: Header=BB1_4 Depth=1
	v_mov_b32_e32 v21, 0
	s_or_b32 s3, vcc_lo, s63
	s_delay_alu instid0(SALU_CYCLE_1) | instskip(NEXT) | instid1(SALU_CYCLE_1)
	s_nor_b32 s3, s3, s0
	s_and_saveexec_b32 s67, s3
	s_cbranch_execz .LBB1_50
; %bb.49:                               ;   in Loop: Header=BB1_4 Depth=1
	v_cmp_eq_u32_e64 s3, v17, v5
	v_cmp_eq_u32_e64 s4, v4, v5
	v_sub_f32_e32 v20, v7, v20
	s_and_b32 s5, s1, s3
	v_add_nc_u32_e32 v21, 2, v4
	s_and_b32 s3, s2, s3
	s_delay_alu instid0(VALU_DEP_2) | instskip(SKIP_1) | instid1(VALU_DEP_3)
	v_mul_f32_e32 v22, v19, v20
	v_mul_f32_e32 v20, v15, v20
	v_cvt_f32_u32_e32 v21, v21
	s_delay_alu instid0(VALU_DEP_1) | instskip(NEXT) | instid1(VALU_DEP_1)
	v_sub_f32_e32 v21, v21, v3
	v_mul_f32_e32 v17, v19, v21
	s_delay_alu instid0(VALU_DEP_1)
	v_cndmask_b32_e64 v17, 0, v17, s5
	s_and_b32 s5, s1, s4
	s_delay_alu instid0(VALU_DEP_1) | instid1(SALU_CYCLE_1)
	v_dual_mul_f32 v21, v15, v21 :: v_dual_cndmask_b32 v17, v17, v22, s5
	s_delay_alu instid0(VALU_DEP_1)
	v_cndmask_b32_e64 v17, v17, v21, s3
	s_and_b32 s3, s2, s4
	s_delay_alu instid0(VALU_DEP_1) | instid1(SALU_CYCLE_1)
	v_cndmask_b32_e64 v21, v17, v20, s3
.LBB1_50:                               ;   in Loop: Header=BB1_4 Depth=1
	s_or_b32 exec_lo, exec_lo, s67
	s_delay_alu instid0(VALU_DEP_1)
	v_mul_f32_e32 v17, v0, v21
	global_atomic_add_f32 v18, v17, s[30:31] offset:4 scale_offset scope:SCOPE_DEV
.LBB1_51:                               ;   in Loop: Header=BB1_4 Depth=1
	s_wait_xcnt 0x0
	s_or_b32 exec_lo, exec_lo, s66
	v_add_nc_u32_e32 v17, 2, v4
	v_cmp_gt_i32_e64 s3, -2, v4
	s_delay_alu instid0(VALU_DEP_2) | instskip(SKIP_1) | instid1(SALU_CYCLE_1)
	v_cmp_le_i32_e64 s4, s10, v17
	s_or_b32 s3, s3, s4
	s_nor_b32 s3, s3, s65
	s_delay_alu instid0(SALU_CYCLE_1)
	s_and_b32 exec_lo, exec_lo, s3
	s_cbranch_execz .LBB1_56
; %bb.52:                               ;   in Loop: Header=BB1_4 Depth=1
	v_cvt_f32_u32_e32 v20, v17
	s_delay_alu instid0(VALU_DEP_1) | instskip(NEXT) | instid1(VALU_DEP_1)
	v_sub_f32_e32 v21, v3, v20
	v_cmp_lt_f32_e64 s3, |v21|, 1.0
	s_and_b32 exec_lo, exec_lo, s3
	s_cbranch_execz .LBB1_56
; %bb.53:                               ;   in Loop: Header=BB1_4 Depth=1
	v_mov_b32_e32 v21, 0
	s_or_b32 s3, vcc_lo, s63
	s_delay_alu instid0(SALU_CYCLE_1) | instskip(NEXT) | instid1(SALU_CYCLE_1)
	s_nor_b32 s3, s3, s0
	s_and_saveexec_b32 s65, s3
	s_cbranch_execz .LBB1_55
; %bb.54:                               ;   in Loop: Header=BB1_4 Depth=1
	v_cmp_eq_u32_e64 s3, v17, v5
	v_cmp_eq_u32_e64 s4, v17, v6
	v_sub_f32_e32 v20, v7, v20
	s_and_b32 s5, s1, s3
	v_add_nc_u32_e32 v21, 3, v4
	s_and_b32 s1, s1, s4
	s_delay_alu instid0(VALU_DEP_2) | instskip(NEXT) | instid1(VALU_DEP_2)
	v_mul_f32_e32 v17, v19, v20
	v_cvt_f32_u32_e32 v21, v21
	s_delay_alu instid0(VALU_DEP_1) | instskip(NEXT) | instid1(VALU_DEP_1)
	v_sub_f32_e32 v21, v21, v3
	v_mul_f32_e32 v22, v19, v21
	v_dual_mul_f32 v21, v15, v21 :: v_dual_mul_f32 v15, v15, v20
	s_delay_alu instid0(VALU_DEP_2) | instskip(NEXT) | instid1(VALU_DEP_1)
	v_cndmask_b32_e64 v19, 0, v22, s5
	v_cndmask_b32_e64 v17, v19, v17, s1
	s_and_b32 s1, s2, s3
	s_delay_alu instid0(VALU_DEP_1) | instid1(SALU_CYCLE_1)
	v_cndmask_b32_e64 v17, v17, v21, s1
	s_and_b32 s1, s2, s4
	s_delay_alu instid0(VALU_DEP_1) | instid1(SALU_CYCLE_1)
	v_cndmask_b32_e64 v21, v17, v15, s1
.LBB1_55:                               ;   in Loop: Header=BB1_4 Depth=1
	s_or_b32 exec_lo, exec_lo, s65
	s_delay_alu instid0(VALU_DEP_1)
	v_mul_f32_e32 v15, v0, v21
	global_atomic_add_f32 v18, v15, s[30:31] offset:8 scale_offset scope:SCOPE_DEV
.LBB1_56:                               ;   in Loop: Header=BB1_4 Depth=1
	s_wait_xcnt 0x0
	s_or_b32 exec_lo, exec_lo, s64
	v_mad_u32 v18, v14, s10, v4
	v_add_nc_u32_e32 v14, 1, v10
	v_cmp_lt_i32_e64 s2, -1, v10
	v_cmp_gt_i32_e64 s3, s9, v10
	v_cmp_eq_u32_e64 s1, v10, v11
	s_delay_alu instid0(VALU_DEP_4) | instskip(SKIP_1) | instid1(SALU_CYCLE_1)
	v_cvt_f32_u32_e32 v17, v14
	s_and_b32 s2, s2, s3
	s_and_saveexec_b32 s64, s2
	s_cbranch_execz .LBB1_82
; %bb.57:                               ;   in Loop: Header=BB1_4 Depth=1
	v_sub_f32_e32 v15, v9, v16
	v_cmp_gt_i32_e64 s3, 2, v4
	v_cmp_le_i32_e64 s4, s10, v8
	v_sub_f32_e32 v19, v17, v9
	v_cmp_eq_u32_e64 s2, v12, v10
	v_cmp_nlt_f32_e64 s65, |v15|, 1.0
	v_sub_f32_e32 v15, v13, v16
	s_or_b32 s3, s3, s4
	s_delay_alu instid0(SALU_CYCLE_1) | instskip(NEXT) | instid1(SALU_CYCLE_1)
	s_nor_b32 s3, s3, s65
	s_and_saveexec_b32 s66, s3
	s_cbranch_execz .LBB1_62
; %bb.58:                               ;   in Loop: Header=BB1_4 Depth=1
	v_cvt_f32_u32_e32 v16, v8
	s_delay_alu instid0(VALU_DEP_1) | instskip(NEXT) | instid1(VALU_DEP_1)
	v_sub_f32_e32 v20, v3, v16
	v_cmp_lt_f32_e64 s3, |v20|, 1.0
	s_and_b32 exec_lo, exec_lo, s3
	s_cbranch_execz .LBB1_62
; %bb.59:                               ;   in Loop: Header=BB1_4 Depth=1
	v_mov_b32_e32 v20, 0
	s_or_b32 s3, vcc_lo, s63
	s_delay_alu instid0(SALU_CYCLE_1) | instskip(NEXT) | instid1(SALU_CYCLE_1)
	s_nor_b32 s3, s3, s0
	s_and_saveexec_b32 s67, s3
	s_cbranch_execz .LBB1_61
; %bb.60:                               ;   in Loop: Header=BB1_4 Depth=1
	v_cmp_eq_u32_e64 s3, v8, v5
	v_cmp_eq_u32_e64 s4, v8, v6
	v_sub_f32_e32 v16, v7, v16
	s_and_b32 s5, s1, s3
	v_add_nc_u32_e32 v20, -1, v4
	s_and_b32 s3, s2, s3
	s_delay_alu instid0(VALU_DEP_2) | instskip(SKIP_1) | instid1(VALU_DEP_3)
	v_mul_f32_e32 v22, v19, v16
	v_mul_f32_e32 v16, v15, v16
	v_cvt_f32_u32_e32 v20, v20
	s_delay_alu instid0(VALU_DEP_1) | instskip(NEXT) | instid1(VALU_DEP_1)
	v_sub_f32_e32 v20, v20, v3
	v_mul_f32_e32 v21, v19, v20
	s_delay_alu instid0(VALU_DEP_1)
	v_cndmask_b32_e64 v21, 0, v21, s5
	s_and_b32 s5, s1, s4
	s_delay_alu instid0(VALU_DEP_1) | instid1(SALU_CYCLE_1)
	v_dual_mul_f32 v20, v15, v20 :: v_dual_cndmask_b32 v21, v21, v22, s5
	s_delay_alu instid0(VALU_DEP_1)
	v_cndmask_b32_e64 v20, v21, v20, s3
	s_and_b32 s3, s2, s4
	s_delay_alu instid0(VALU_DEP_1) | instid1(SALU_CYCLE_1)
	v_cndmask_b32_e64 v20, v20, v16, s3
.LBB1_61:                               ;   in Loop: Header=BB1_4 Depth=1
	s_or_b32 exec_lo, exec_lo, s67
	s_delay_alu instid0(VALU_DEP_1)
	v_mul_f32_e32 v16, v0, v20
	global_atomic_add_f32 v18, v16, s[30:31] offset:-8 scale_offset scope:SCOPE_DEV
.LBB1_62:                               ;   in Loop: Header=BB1_4 Depth=1
	s_wait_xcnt 0x0
	s_or_b32 exec_lo, exec_lo, s66
	v_cmp_gt_i32_e64 s3, 1, v4
	v_cmp_lt_i32_e64 s4, s10, v4
	s_or_b32 s3, s3, s4
	s_delay_alu instid0(SALU_CYCLE_1) | instskip(NEXT) | instid1(SALU_CYCLE_1)
	s_nor_b32 s3, s3, s65
	s_and_saveexec_b32 s66, s3
	s_cbranch_execz .LBB1_67
; %bb.63:                               ;   in Loop: Header=BB1_4 Depth=1
	v_add_nc_u32_e32 v16, -1, v4
	s_delay_alu instid0(VALU_DEP_1) | instskip(NEXT) | instid1(VALU_DEP_1)
	v_cvt_f32_u32_e32 v20, v16
	v_sub_f32_e32 v21, v3, v20
	s_delay_alu instid0(VALU_DEP_1)
	v_cmp_lt_f32_e64 s3, |v21|, 1.0
	s_and_b32 exec_lo, exec_lo, s3
	s_cbranch_execz .LBB1_67
; %bb.64:                               ;   in Loop: Header=BB1_4 Depth=1
	v_mov_b32_e32 v21, 0
	s_or_b32 s3, vcc_lo, s63
	s_delay_alu instid0(SALU_CYCLE_1) | instskip(NEXT) | instid1(SALU_CYCLE_1)
	s_nor_b32 s3, s3, s0
	s_and_saveexec_b32 s67, s3
	s_cbranch_execz .LBB1_66
; %bb.65:                               ;   in Loop: Header=BB1_4 Depth=1
	v_cvt_f32_u32_e32 v21, v4
	v_cmp_eq_u32_e64 s3, v16, v5
	v_cmp_eq_u32_e64 s4, v16, v6
	s_delay_alu instid0(VALU_DEP_3) | instskip(SKIP_2) | instid1(VALU_DEP_1)
	v_dual_sub_f32 v20, v7, v20 :: v_dual_sub_f32 v21, v21, v3
	s_and_b32 s5, s1, s3
	s_and_b32 s3, s2, s3
	v_mul_f32_e32 v16, v19, v20
	v_mul_f32_e32 v20, v15, v20
	;; [unrolled: 1-line block ×3, first 2 shown]
	s_delay_alu instid0(VALU_DEP_1)
	v_dual_mul_f32 v21, v15, v21 :: v_dual_cndmask_b32 v22, 0, v22, s5
	s_and_b32 s5, s1, s4
	s_delay_alu instid0(VALU_DEP_1) | instid1(SALU_CYCLE_1)
	v_cndmask_b32_e64 v16, v22, v16, s5
	s_delay_alu instid0(VALU_DEP_1)
	v_cndmask_b32_e64 v16, v16, v21, s3
	s_and_b32 s3, s2, s4
	s_delay_alu instid0(VALU_DEP_1) | instid1(SALU_CYCLE_1)
	v_cndmask_b32_e64 v21, v16, v20, s3
.LBB1_66:                               ;   in Loop: Header=BB1_4 Depth=1
	s_or_b32 exec_lo, exec_lo, s67
	s_delay_alu instid0(VALU_DEP_1)
	v_mul_f32_e32 v16, v0, v21
	global_atomic_add_f32 v18, v16, s[30:31] offset:-4 scale_offset scope:SCOPE_DEV
.LBB1_67:                               ;   in Loop: Header=BB1_4 Depth=1
	s_wait_xcnt 0x0
	s_or_b32 exec_lo, exec_lo, s66
	v_cmp_gt_i32_e64 s3, 0, v4
	v_cmp_le_i32_e64 s4, s10, v4
	s_or_b32 s3, s3, s4
	s_delay_alu instid0(SALU_CYCLE_1) | instskip(NEXT) | instid1(SALU_CYCLE_1)
	s_nor_b32 s3, s3, s65
	s_and_saveexec_b32 s66, s3
	s_cbranch_execz .LBB1_72
; %bb.68:                               ;   in Loop: Header=BB1_4 Depth=1
	v_cvt_f32_u32_e32 v16, v4
	s_delay_alu instid0(VALU_DEP_1) | instskip(NEXT) | instid1(VALU_DEP_1)
	v_sub_f32_e32 v20, v3, v16
	v_cmp_lt_f32_e64 s3, |v20|, 1.0
	s_and_b32 exec_lo, exec_lo, s3
	s_cbranch_execz .LBB1_72
; %bb.69:                               ;   in Loop: Header=BB1_4 Depth=1
	v_mov_b32_e32 v20, 0
	s_or_b32 s3, vcc_lo, s63
	s_delay_alu instid0(SALU_CYCLE_1) | instskip(NEXT) | instid1(SALU_CYCLE_1)
	s_nor_b32 s3, s3, s0
	s_and_saveexec_b32 s67, s3
	s_cbranch_execz .LBB1_71
; %bb.70:                               ;   in Loop: Header=BB1_4 Depth=1
	v_cmp_eq_u32_e64 s3, v4, v5
	v_cmp_eq_u32_e64 s4, v6, v4
	v_sub_f32_e32 v16, v7, v16
	s_and_b32 s5, s1, s3
	v_add_nc_u32_e32 v20, 1, v4
	s_and_b32 s3, s2, s3
	s_delay_alu instid0(VALU_DEP_2) | instskip(SKIP_1) | instid1(VALU_DEP_3)
	v_mul_f32_e32 v22, v19, v16
	v_mul_f32_e32 v16, v15, v16
	v_cvt_f32_u32_e32 v20, v20
	s_delay_alu instid0(VALU_DEP_1) | instskip(NEXT) | instid1(VALU_DEP_1)
	v_sub_f32_e32 v20, v20, v3
	v_mul_f32_e32 v21, v19, v20
	s_delay_alu instid0(VALU_DEP_1)
	v_cndmask_b32_e64 v21, 0, v21, s5
	s_and_b32 s5, s1, s4
	s_delay_alu instid0(VALU_DEP_1) | instid1(SALU_CYCLE_1)
	v_dual_mul_f32 v20, v15, v20 :: v_dual_cndmask_b32 v21, v21, v22, s5
	s_delay_alu instid0(VALU_DEP_1)
	v_cndmask_b32_e64 v20, v21, v20, s3
	s_and_b32 s3, s2, s4
	s_delay_alu instid0(VALU_DEP_1) | instid1(SALU_CYCLE_1)
	v_cndmask_b32_e64 v20, v20, v16, s3
.LBB1_71:                               ;   in Loop: Header=BB1_4 Depth=1
	s_or_b32 exec_lo, exec_lo, s67
	s_delay_alu instid0(VALU_DEP_1)
	v_mul_f32_e32 v16, v0, v20
	global_atomic_add_f32 v18, v16, s[30:31] scale_offset scope:SCOPE_DEV
.LBB1_72:                               ;   in Loop: Header=BB1_4 Depth=1
	s_wait_xcnt 0x0
	s_or_b32 exec_lo, exec_lo, s66
	v_add_nc_u32_e32 v16, 1, v4
	v_cmp_gt_i32_e64 s3, -1, v4
	s_delay_alu instid0(VALU_DEP_2) | instskip(SKIP_1) | instid1(SALU_CYCLE_1)
	v_cmp_le_i32_e64 s4, s10, v16
	s_or_b32 s3, s3, s4
	s_nor_b32 s3, s3, s65
	s_delay_alu instid0(SALU_CYCLE_1)
	s_and_saveexec_b32 s66, s3
	s_cbranch_execz .LBB1_77
; %bb.73:                               ;   in Loop: Header=BB1_4 Depth=1
	v_cvt_f32_u32_e32 v20, v16
	s_delay_alu instid0(VALU_DEP_1) | instskip(NEXT) | instid1(VALU_DEP_1)
	v_sub_f32_e32 v21, v3, v20
	v_cmp_lt_f32_e64 s3, |v21|, 1.0
	s_and_b32 exec_lo, exec_lo, s3
	s_cbranch_execz .LBB1_77
; %bb.74:                               ;   in Loop: Header=BB1_4 Depth=1
	v_mov_b32_e32 v21, 0
	s_or_b32 s3, vcc_lo, s63
	s_delay_alu instid0(SALU_CYCLE_1) | instskip(NEXT) | instid1(SALU_CYCLE_1)
	s_nor_b32 s3, s3, s0
	s_and_saveexec_b32 s67, s3
	s_cbranch_execz .LBB1_76
; %bb.75:                               ;   in Loop: Header=BB1_4 Depth=1
	v_cmp_eq_u32_e64 s3, v16, v5
	v_cmp_eq_u32_e64 s4, v4, v5
	s_and_b32 s5, s1, s3
	s_and_b32 s3, s2, s3
	v_sub_f32_e32 v20, v7, v20
	s_delay_alu instid0(VALU_DEP_1) | instskip(SKIP_1) | instid1(VALU_DEP_1)
	v_mul_f32_e32 v22, v19, v20
	v_add_nc_u32_e32 v21, 2, v4
	v_cvt_f32_u32_e32 v21, v21
	s_delay_alu instid0(VALU_DEP_1) | instskip(NEXT) | instid1(VALU_DEP_1)
	v_sub_f32_e32 v21, v21, v3
	v_mul_f32_e32 v16, v19, v21
	s_delay_alu instid0(VALU_DEP_1)
	v_cndmask_b32_e64 v16, 0, v16, s5
	s_and_b32 s5, s1, s4
	s_delay_alu instid0(VALU_DEP_1) | instid1(SALU_CYCLE_1)
	v_dual_mul_f32 v21, v15, v21 :: v_dual_cndmask_b32 v16, v16, v22, s5
	s_delay_alu instid0(VALU_DEP_1)
	v_dual_cndmask_b32 v16, v16, v21, s3 :: v_dual_mul_f32 v20, v15, v20
	s_and_b32 s3, s2, s4
	s_delay_alu instid0(VALU_DEP_1) | instid1(SALU_CYCLE_1)
	v_cndmask_b32_e64 v21, v16, v20, s3
.LBB1_76:                               ;   in Loop: Header=BB1_4 Depth=1
	s_or_b32 exec_lo, exec_lo, s67
	s_delay_alu instid0(VALU_DEP_1)
	v_mul_f32_e32 v16, v0, v21
	global_atomic_add_f32 v18, v16, s[30:31] offset:4 scale_offset scope:SCOPE_DEV
.LBB1_77:                               ;   in Loop: Header=BB1_4 Depth=1
	s_wait_xcnt 0x0
	s_or_b32 exec_lo, exec_lo, s66
	v_add_nc_u32_e32 v16, 2, v4
	v_cmp_gt_i32_e64 s3, -2, v4
	s_delay_alu instid0(VALU_DEP_2) | instskip(SKIP_1) | instid1(SALU_CYCLE_1)
	v_cmp_le_i32_e64 s4, s10, v16
	s_or_b32 s3, s3, s4
	s_nor_b32 s3, s3, s65
	s_delay_alu instid0(SALU_CYCLE_1)
	s_and_b32 exec_lo, exec_lo, s3
	s_cbranch_execz .LBB1_82
; %bb.78:                               ;   in Loop: Header=BB1_4 Depth=1
	v_cvt_f32_u32_e32 v20, v16
	s_delay_alu instid0(VALU_DEP_1) | instskip(NEXT) | instid1(VALU_DEP_1)
	v_sub_f32_e32 v21, v3, v20
	v_cmp_lt_f32_e64 s3, |v21|, 1.0
	s_and_b32 exec_lo, exec_lo, s3
	s_cbranch_execz .LBB1_82
; %bb.79:                               ;   in Loop: Header=BB1_4 Depth=1
	v_mov_b32_e32 v21, 0
	s_or_b32 s3, vcc_lo, s63
	s_delay_alu instid0(SALU_CYCLE_1) | instskip(NEXT) | instid1(SALU_CYCLE_1)
	s_nor_b32 s3, s3, s0
	s_and_saveexec_b32 s65, s3
	s_cbranch_execz .LBB1_81
; %bb.80:                               ;   in Loop: Header=BB1_4 Depth=1
	v_cmp_eq_u32_e64 s3, v16, v5
	v_cmp_eq_u32_e64 s4, v16, v6
	v_sub_f32_e32 v20, v7, v20
	s_and_b32 s5, s1, s3
	v_add_nc_u32_e32 v21, 3, v4
	s_and_b32 s3, s2, s3
	s_and_b32 s2, s2, s4
	v_mul_f32_e32 v16, v19, v20
	s_delay_alu instid0(VALU_DEP_2) | instskip(NEXT) | instid1(VALU_DEP_1)
	v_cvt_f32_u32_e32 v21, v21
	v_sub_f32_e32 v21, v21, v3
	s_delay_alu instid0(VALU_DEP_1) | instskip(SKIP_1) | instid1(VALU_DEP_2)
	v_mul_f32_e32 v22, v19, v21
	v_dual_mul_f32 v21, v15, v21 :: v_dual_mul_f32 v15, v15, v20
	v_cndmask_b32_e64 v19, 0, v22, s5
	s_and_b32 s5, s1, s4
	s_delay_alu instid0(VALU_DEP_1) | instid1(SALU_CYCLE_1)
	v_cndmask_b32_e64 v16, v19, v16, s5
	s_delay_alu instid0(VALU_DEP_1) | instskip(NEXT) | instid1(VALU_DEP_1)
	v_cndmask_b32_e64 v16, v16, v21, s3
	v_cndmask_b32_e64 v21, v16, v15, s2
.LBB1_81:                               ;   in Loop: Header=BB1_4 Depth=1
	s_or_b32 exec_lo, exec_lo, s65
	s_delay_alu instid0(VALU_DEP_1)
	v_mul_f32_e32 v15, v0, v21
	global_atomic_add_f32 v18, v15, s[30:31] offset:8 scale_offset scope:SCOPE_DEV
.LBB1_82:                               ;   in Loop: Header=BB1_4 Depth=1
	s_wait_xcnt 0x0
	s_or_b32 exec_lo, exec_lo, s64
	v_add_nc_u32_e32 v15, 2, v10
	v_cmp_lt_i32_e64 s2, -2, v10
	v_cmp_gt_i32_e64 s3, s9, v14
	v_add_nc_u32_e32 v18, s10, v18
	s_delay_alu instid0(VALU_DEP_4) | instskip(SKIP_1) | instid1(SALU_CYCLE_1)
	v_cvt_f32_u32_e32 v16, v15
	s_and_b32 s2, s2, s3
	s_and_saveexec_b32 s64, s2
	s_cbranch_execz .LBB1_108
; %bb.83:                               ;   in Loop: Header=BB1_4 Depth=1
	v_sub_f32_e32 v19, v9, v17
	v_cmp_gt_i32_e64 s3, 2, v4
	v_cmp_le_i32_e64 s4, s10, v8
	v_cmp_eq_u32_e64 s2, v14, v11
	v_sub_f32_e32 v14, v13, v17
	v_cmp_nlt_f32_e64 s65, |v19|, 1.0
	v_sub_f32_e32 v19, v16, v9
	s_or_b32 s3, s3, s4
	s_delay_alu instid0(SALU_CYCLE_1) | instskip(NEXT) | instid1(SALU_CYCLE_1)
	s_nor_b32 s3, s3, s65
	s_and_saveexec_b32 s66, s3
	s_cbranch_execz .LBB1_88
; %bb.84:                               ;   in Loop: Header=BB1_4 Depth=1
	v_cvt_f32_u32_e32 v17, v8
	s_delay_alu instid0(VALU_DEP_1) | instskip(NEXT) | instid1(VALU_DEP_1)
	v_sub_f32_e32 v20, v3, v17
	v_cmp_lt_f32_e64 s3, |v20|, 1.0
	s_and_b32 exec_lo, exec_lo, s3
	s_cbranch_execz .LBB1_88
; %bb.85:                               ;   in Loop: Header=BB1_4 Depth=1
	v_mov_b32_e32 v20, 0
	s_or_b32 s3, vcc_lo, s63
	s_delay_alu instid0(SALU_CYCLE_1) | instskip(NEXT) | instid1(SALU_CYCLE_1)
	s_nor_b32 s3, s3, s0
	s_and_saveexec_b32 s67, s3
	s_cbranch_execz .LBB1_87
; %bb.86:                               ;   in Loop: Header=BB1_4 Depth=1
	v_dual_sub_f32 v17, v7, v17 :: v_dual_add_nc_u32 v20, -1, v4
	v_cmp_eq_u32_e64 s3, v8, v5
	v_cmp_eq_u32_e64 s4, v8, v6
	s_delay_alu instid0(VALU_DEP_3) | instskip(NEXT) | instid1(VALU_DEP_4)
	v_cvt_f32_u32_e32 v20, v20
	v_mul_f32_e32 v22, v19, v17
	s_and_b32 s5, s2, s3
	s_and_b32 s3, s1, s3
	s_delay_alu instid0(VALU_DEP_2) | instskip(NEXT) | instid1(VALU_DEP_1)
	v_dual_mul_f32 v17, v14, v17 :: v_dual_sub_f32 v20, v20, v3
	v_dual_mul_f32 v21, v19, v20 :: v_dual_mul_f32 v20, v14, v20
	s_delay_alu instid0(VALU_DEP_1)
	v_cndmask_b32_e64 v21, 0, v21, s5
	s_and_b32 s5, s2, s4
	s_delay_alu instid0(VALU_DEP_1) | instid1(SALU_CYCLE_1)
	v_cndmask_b32_e64 v21, v21, v22, s5
	s_delay_alu instid0(VALU_DEP_1)
	v_cndmask_b32_e64 v20, v21, v20, s3
	s_and_b32 s3, s1, s4
	s_delay_alu instid0(VALU_DEP_1) | instid1(SALU_CYCLE_1)
	v_cndmask_b32_e64 v20, v20, v17, s3
.LBB1_87:                               ;   in Loop: Header=BB1_4 Depth=1
	s_or_b32 exec_lo, exec_lo, s67
	s_delay_alu instid0(VALU_DEP_1)
	v_mul_f32_e32 v17, v0, v20
	global_atomic_add_f32 v18, v17, s[30:31] offset:-8 scale_offset scope:SCOPE_DEV
.LBB1_88:                               ;   in Loop: Header=BB1_4 Depth=1
	s_wait_xcnt 0x0
	s_or_b32 exec_lo, exec_lo, s66
	v_cmp_gt_i32_e64 s3, 1, v4
	v_cmp_lt_i32_e64 s4, s10, v4
	s_or_b32 s3, s3, s4
	s_delay_alu instid0(SALU_CYCLE_1) | instskip(NEXT) | instid1(SALU_CYCLE_1)
	s_nor_b32 s3, s3, s65
	s_and_saveexec_b32 s66, s3
	s_cbranch_execz .LBB1_93
; %bb.89:                               ;   in Loop: Header=BB1_4 Depth=1
	v_add_nc_u32_e32 v17, -1, v4
	s_delay_alu instid0(VALU_DEP_1) | instskip(NEXT) | instid1(VALU_DEP_1)
	v_cvt_f32_u32_e32 v20, v17
	v_sub_f32_e32 v21, v3, v20
	s_delay_alu instid0(VALU_DEP_1)
	v_cmp_lt_f32_e64 s3, |v21|, 1.0
	s_and_b32 exec_lo, exec_lo, s3
	s_cbranch_execz .LBB1_93
; %bb.90:                               ;   in Loop: Header=BB1_4 Depth=1
	v_mov_b32_e32 v21, 0
	s_or_b32 s3, vcc_lo, s63
	s_delay_alu instid0(SALU_CYCLE_1) | instskip(NEXT) | instid1(SALU_CYCLE_1)
	s_nor_b32 s3, s3, s0
	s_and_saveexec_b32 s67, s3
	s_cbranch_execz .LBB1_92
; %bb.91:                               ;   in Loop: Header=BB1_4 Depth=1
	v_cvt_f32_u32_e32 v21, v4
	v_cmp_eq_u32_e64 s3, v17, v5
	v_cmp_eq_u32_e64 s4, v17, v6
	s_delay_alu instid0(VALU_DEP_3) | instskip(SKIP_2) | instid1(VALU_DEP_1)
	v_dual_sub_f32 v20, v7, v20 :: v_dual_sub_f32 v21, v21, v3
	s_and_b32 s5, s2, s3
	s_and_b32 s3, s1, s3
	v_dual_mul_f32 v17, v19, v20 :: v_dual_mul_f32 v20, v14, v20
	s_delay_alu instid0(VALU_DEP_2) | instskip(NEXT) | instid1(VALU_DEP_1)
	v_dual_mul_f32 v22, v19, v21 :: v_dual_mul_f32 v21, v14, v21
	v_cndmask_b32_e64 v22, 0, v22, s5
	s_and_b32 s5, s2, s4
	s_delay_alu instid0(VALU_DEP_1) | instid1(SALU_CYCLE_1)
	v_cndmask_b32_e64 v17, v22, v17, s5
	s_delay_alu instid0(VALU_DEP_1)
	v_cndmask_b32_e64 v17, v17, v21, s3
	s_and_b32 s3, s1, s4
	s_delay_alu instid0(VALU_DEP_1) | instid1(SALU_CYCLE_1)
	v_cndmask_b32_e64 v21, v17, v20, s3
.LBB1_92:                               ;   in Loop: Header=BB1_4 Depth=1
	s_or_b32 exec_lo, exec_lo, s67
	s_delay_alu instid0(VALU_DEP_1)
	v_mul_f32_e32 v17, v0, v21
	global_atomic_add_f32 v18, v17, s[30:31] offset:-4 scale_offset scope:SCOPE_DEV
.LBB1_93:                               ;   in Loop: Header=BB1_4 Depth=1
	s_wait_xcnt 0x0
	s_or_b32 exec_lo, exec_lo, s66
	v_cmp_gt_i32_e64 s3, 0, v4
	v_cmp_le_i32_e64 s4, s10, v4
	s_or_b32 s3, s3, s4
	s_delay_alu instid0(SALU_CYCLE_1) | instskip(NEXT) | instid1(SALU_CYCLE_1)
	s_nor_b32 s3, s3, s65
	s_and_saveexec_b32 s66, s3
	s_cbranch_execz .LBB1_98
; %bb.94:                               ;   in Loop: Header=BB1_4 Depth=1
	v_cvt_f32_u32_e32 v17, v4
	s_delay_alu instid0(VALU_DEP_1) | instskip(NEXT) | instid1(VALU_DEP_1)
	v_sub_f32_e32 v20, v3, v17
	v_cmp_lt_f32_e64 s3, |v20|, 1.0
	s_and_b32 exec_lo, exec_lo, s3
	s_cbranch_execz .LBB1_98
; %bb.95:                               ;   in Loop: Header=BB1_4 Depth=1
	v_mov_b32_e32 v20, 0
	s_or_b32 s3, vcc_lo, s63
	s_delay_alu instid0(SALU_CYCLE_1) | instskip(NEXT) | instid1(SALU_CYCLE_1)
	s_nor_b32 s3, s3, s0
	s_and_saveexec_b32 s67, s3
	s_cbranch_execz .LBB1_97
; %bb.96:                               ;   in Loop: Header=BB1_4 Depth=1
	v_dual_sub_f32 v17, v7, v17 :: v_dual_add_nc_u32 v20, 1, v4
	v_cmp_eq_u32_e64 s3, v4, v5
	v_cmp_eq_u32_e64 s4, v6, v4
	s_delay_alu instid0(VALU_DEP_3) | instskip(NEXT) | instid1(VALU_DEP_4)
	v_cvt_f32_u32_e32 v20, v20
	v_mul_f32_e32 v22, v19, v17
	s_and_b32 s5, s2, s3
	s_and_b32 s3, s1, s3
	s_delay_alu instid0(VALU_DEP_2) | instskip(NEXT) | instid1(VALU_DEP_1)
	v_dual_mul_f32 v17, v14, v17 :: v_dual_sub_f32 v20, v20, v3
	v_dual_mul_f32 v21, v19, v20 :: v_dual_mul_f32 v20, v14, v20
	s_delay_alu instid0(VALU_DEP_1)
	v_cndmask_b32_e64 v21, 0, v21, s5
	s_and_b32 s5, s2, s4
	s_delay_alu instid0(VALU_DEP_1) | instid1(SALU_CYCLE_1)
	v_cndmask_b32_e64 v21, v21, v22, s5
	s_delay_alu instid0(VALU_DEP_1)
	v_cndmask_b32_e64 v20, v21, v20, s3
	s_and_b32 s3, s1, s4
	s_delay_alu instid0(VALU_DEP_1) | instid1(SALU_CYCLE_1)
	v_cndmask_b32_e64 v20, v20, v17, s3
.LBB1_97:                               ;   in Loop: Header=BB1_4 Depth=1
	s_or_b32 exec_lo, exec_lo, s67
	s_delay_alu instid0(VALU_DEP_1)
	v_mul_f32_e32 v17, v0, v20
	global_atomic_add_f32 v18, v17, s[30:31] scale_offset scope:SCOPE_DEV
.LBB1_98:                               ;   in Loop: Header=BB1_4 Depth=1
	s_wait_xcnt 0x0
	s_or_b32 exec_lo, exec_lo, s66
	v_add_nc_u32_e32 v17, 1, v4
	v_cmp_gt_i32_e64 s3, -1, v4
	s_delay_alu instid0(VALU_DEP_2) | instskip(SKIP_1) | instid1(SALU_CYCLE_1)
	v_cmp_le_i32_e64 s4, s10, v17
	s_or_b32 s3, s3, s4
	s_nor_b32 s3, s3, s65
	s_delay_alu instid0(SALU_CYCLE_1)
	s_and_saveexec_b32 s66, s3
	s_cbranch_execz .LBB1_103
; %bb.99:                               ;   in Loop: Header=BB1_4 Depth=1
	v_cvt_f32_u32_e32 v20, v17
	s_delay_alu instid0(VALU_DEP_1) | instskip(NEXT) | instid1(VALU_DEP_1)
	v_sub_f32_e32 v21, v3, v20
	v_cmp_lt_f32_e64 s3, |v21|, 1.0
	s_and_b32 exec_lo, exec_lo, s3
	s_cbranch_execz .LBB1_103
; %bb.100:                              ;   in Loop: Header=BB1_4 Depth=1
	v_mov_b32_e32 v21, 0
	s_or_b32 s3, vcc_lo, s63
	s_delay_alu instid0(SALU_CYCLE_1) | instskip(NEXT) | instid1(SALU_CYCLE_1)
	s_nor_b32 s3, s3, s0
	s_and_saveexec_b32 s67, s3
	s_cbranch_execz .LBB1_102
; %bb.101:                              ;   in Loop: Header=BB1_4 Depth=1
	v_cmp_eq_u32_e64 s3, v17, v5
	v_cmp_eq_u32_e64 s4, v4, v5
	v_sub_f32_e32 v20, v7, v20
	s_and_b32 s5, s2, s3
	v_add_nc_u32_e32 v21, 2, v4
	s_and_b32 s3, s1, s3
	s_delay_alu instid0(VALU_DEP_2) | instskip(NEXT) | instid1(VALU_DEP_2)
	v_dual_mul_f32 v22, v19, v20 :: v_dual_mul_f32 v20, v14, v20
	v_cvt_f32_u32_e32 v21, v21
	s_delay_alu instid0(VALU_DEP_1) | instskip(NEXT) | instid1(VALU_DEP_1)
	v_sub_f32_e32 v21, v21, v3
	v_mul_f32_e32 v17, v19, v21
	s_delay_alu instid0(VALU_DEP_1)
	v_cndmask_b32_e64 v17, 0, v17, s5
	s_and_b32 s5, s2, s4
	s_delay_alu instid0(VALU_DEP_1) | instid1(SALU_CYCLE_1)
	v_dual_mul_f32 v21, v14, v21 :: v_dual_cndmask_b32 v17, v17, v22, s5
	s_delay_alu instid0(VALU_DEP_1)
	v_cndmask_b32_e64 v17, v17, v21, s3
	s_and_b32 s3, s1, s4
	s_delay_alu instid0(VALU_DEP_1) | instid1(SALU_CYCLE_1)
	v_cndmask_b32_e64 v21, v17, v20, s3
.LBB1_102:                              ;   in Loop: Header=BB1_4 Depth=1
	s_or_b32 exec_lo, exec_lo, s67
	s_delay_alu instid0(VALU_DEP_1)
	v_mul_f32_e32 v17, v0, v21
	global_atomic_add_f32 v18, v17, s[30:31] offset:4 scale_offset scope:SCOPE_DEV
.LBB1_103:                              ;   in Loop: Header=BB1_4 Depth=1
	s_wait_xcnt 0x0
	s_or_b32 exec_lo, exec_lo, s66
	v_add_nc_u32_e32 v17, 2, v4
	v_cmp_gt_i32_e64 s3, -2, v4
	s_delay_alu instid0(VALU_DEP_2) | instskip(SKIP_1) | instid1(SALU_CYCLE_1)
	v_cmp_le_i32_e64 s4, s10, v17
	s_or_b32 s3, s3, s4
	s_nor_b32 s3, s3, s65
	s_delay_alu instid0(SALU_CYCLE_1)
	s_and_b32 exec_lo, exec_lo, s3
	s_cbranch_execz .LBB1_108
; %bb.104:                              ;   in Loop: Header=BB1_4 Depth=1
	v_cvt_f32_u32_e32 v20, v17
	s_delay_alu instid0(VALU_DEP_1) | instskip(NEXT) | instid1(VALU_DEP_1)
	v_sub_f32_e32 v21, v3, v20
	v_cmp_lt_f32_e64 s3, |v21|, 1.0
	s_and_b32 exec_lo, exec_lo, s3
	s_cbranch_execz .LBB1_108
; %bb.105:                              ;   in Loop: Header=BB1_4 Depth=1
	v_mov_b32_e32 v21, 0
	s_or_b32 s3, vcc_lo, s63
	s_delay_alu instid0(SALU_CYCLE_1) | instskip(NEXT) | instid1(SALU_CYCLE_1)
	s_nor_b32 s3, s3, s0
	s_and_saveexec_b32 s65, s3
	s_cbranch_execz .LBB1_107
; %bb.106:                              ;   in Loop: Header=BB1_4 Depth=1
	v_cmp_eq_u32_e64 s3, v17, v5
	v_cmp_eq_u32_e64 s4, v17, v6
	v_sub_f32_e32 v20, v7, v20
	s_and_b32 s5, s2, s3
	v_add_nc_u32_e32 v21, 3, v4
	s_and_b32 s2, s2, s4
	s_delay_alu instid0(VALU_DEP_2) | instskip(NEXT) | instid1(VALU_DEP_2)
	v_mul_f32_e32 v17, v19, v20
	v_cvt_f32_u32_e32 v21, v21
	s_delay_alu instid0(VALU_DEP_1) | instskip(NEXT) | instid1(VALU_DEP_1)
	v_sub_f32_e32 v21, v21, v3
	v_dual_mul_f32 v22, v19, v21 :: v_dual_mul_f32 v21, v14, v21
	s_delay_alu instid0(VALU_DEP_1) | instskip(NEXT) | instid1(VALU_DEP_1)
	v_dual_mul_f32 v14, v14, v20 :: v_dual_cndmask_b32 v19, 0, v22, s5
	v_cndmask_b32_e64 v17, v19, v17, s2
	s_and_b32 s2, s1, s3
	s_and_b32 s1, s1, s4
	s_delay_alu instid0(VALU_DEP_1) | instskip(NEXT) | instid1(VALU_DEP_1)
	v_cndmask_b32_e64 v17, v17, v21, s2
	v_cndmask_b32_e64 v21, v17, v14, s1
.LBB1_107:                              ;   in Loop: Header=BB1_4 Depth=1
	s_or_b32 exec_lo, exec_lo, s65
	s_delay_alu instid0(VALU_DEP_1)
	v_mul_f32_e32 v14, v0, v21
	global_atomic_add_f32 v18, v14, s[30:31] offset:8 scale_offset scope:SCOPE_DEV
.LBB1_108:                              ;   in Loop: Header=BB1_4 Depth=1
	s_wait_xcnt 0x0
	s_or_b32 exec_lo, exec_lo, s64
	v_cmp_lt_i32_e64 s1, -3, v10
	v_cmp_gt_i32_e64 s2, s9, v15
	s_and_b32 s1, s1, s2
	s_delay_alu instid0(SALU_CYCLE_1)
	s_and_saveexec_b32 s64, s1
	s_cbranch_execz .LBB1_3
; %bb.109:                              ;   in Loop: Header=BB1_4 Depth=1
	v_dual_sub_f32 v17, v9, v16 :: v_dual_add_nc_u32 v14, 3, v10
	v_cmp_eq_u32_e64 s1, v15, v11
	v_cmp_gt_i32_e64 s3, 2, v4
	v_cmp_le_i32_e64 s4, s10, v8
	s_delay_alu instid0(VALU_DEP_4)
	v_cvt_f32_u32_e32 v11, v14
	v_cmp_nlt_f32_e64 s65, |v17|, 1.0
	v_add_nc_u32_e32 v10, s10, v18
	v_cmp_eq_u32_e64 s2, v15, v12
	s_or_b32 s3, s3, s4
	v_dual_sub_f32 v11, v11, v9 :: v_dual_sub_f32 v9, v13, v16
	s_nor_b32 s3, s3, s65
	s_delay_alu instid0(SALU_CYCLE_1)
	s_and_saveexec_b32 s66, s3
	s_cbranch_execz .LBB1_114
; %bb.110:                              ;   in Loop: Header=BB1_4 Depth=1
	v_cvt_f32_u32_e32 v12, v8
	s_delay_alu instid0(VALU_DEP_1) | instskip(NEXT) | instid1(VALU_DEP_1)
	v_sub_f32_e32 v13, v3, v12
	v_cmp_lt_f32_e64 s3, |v13|, 1.0
	s_and_b32 exec_lo, exec_lo, s3
	s_cbranch_execz .LBB1_114
; %bb.111:                              ;   in Loop: Header=BB1_4 Depth=1
	v_mov_b32_e32 v13, 0
	s_or_b32 s3, vcc_lo, s63
	s_delay_alu instid0(SALU_CYCLE_1) | instskip(NEXT) | instid1(SALU_CYCLE_1)
	s_nor_b32 s3, s3, s0
	s_and_saveexec_b32 s67, s3
	s_cbranch_execz .LBB1_113
; %bb.112:                              ;   in Loop: Header=BB1_4 Depth=1
	v_cmp_eq_u32_e64 s3, v8, v5
	v_cmp_eq_u32_e64 s4, v8, v6
	v_sub_f32_e32 v12, v7, v12
	s_and_b32 s5, s1, s3
	v_add_nc_u32_e32 v13, -1, v4
	s_and_b32 s3, s2, s3
	s_delay_alu instid0(VALU_DEP_2) | instskip(NEXT) | instid1(VALU_DEP_2)
	v_dual_mul_f32 v8, v11, v12 :: v_dual_mul_f32 v12, v9, v12
	v_cvt_f32_u32_e32 v13, v13
	s_delay_alu instid0(VALU_DEP_1) | instskip(NEXT) | instid1(VALU_DEP_1)
	v_sub_f32_e32 v13, v13, v3
	v_mul_f32_e32 v14, v11, v13
	s_delay_alu instid0(VALU_DEP_1)
	v_cndmask_b32_e64 v14, 0, v14, s5
	s_and_b32 s5, s1, s4
	s_delay_alu instid0(VALU_DEP_1) | instid1(SALU_CYCLE_1)
	v_dual_mul_f32 v13, v9, v13 :: v_dual_cndmask_b32 v8, v14, v8, s5
	s_delay_alu instid0(VALU_DEP_1)
	v_cndmask_b32_e64 v8, v8, v13, s3
	s_and_b32 s3, s2, s4
	s_delay_alu instid0(VALU_DEP_1) | instid1(SALU_CYCLE_1)
	v_cndmask_b32_e64 v13, v8, v12, s3
.LBB1_113:                              ;   in Loop: Header=BB1_4 Depth=1
	s_or_b32 exec_lo, exec_lo, s67
	s_delay_alu instid0(VALU_DEP_1)
	v_mul_f32_e32 v8, v0, v13
	global_atomic_add_f32 v10, v8, s[30:31] offset:-8 scale_offset scope:SCOPE_DEV
.LBB1_114:                              ;   in Loop: Header=BB1_4 Depth=1
	s_wait_xcnt 0x0
	s_or_b32 exec_lo, exec_lo, s66
	v_cmp_gt_i32_e64 s3, 1, v4
	v_cmp_lt_i32_e64 s4, s10, v4
	s_or_b32 s3, s3, s4
	s_delay_alu instid0(SALU_CYCLE_1) | instskip(NEXT) | instid1(SALU_CYCLE_1)
	s_nor_b32 s3, s3, s65
	s_and_saveexec_b32 s66, s3
	s_cbranch_execz .LBB1_119
; %bb.115:                              ;   in Loop: Header=BB1_4 Depth=1
	v_add_nc_u32_e32 v8, -1, v4
	s_delay_alu instid0(VALU_DEP_1) | instskip(NEXT) | instid1(VALU_DEP_1)
	v_cvt_f32_u32_e32 v12, v8
	v_sub_f32_e32 v13, v3, v12
	s_delay_alu instid0(VALU_DEP_1)
	v_cmp_lt_f32_e64 s3, |v13|, 1.0
	s_and_b32 exec_lo, exec_lo, s3
	s_cbranch_execz .LBB1_119
; %bb.116:                              ;   in Loop: Header=BB1_4 Depth=1
	v_mov_b32_e32 v13, 0
	s_or_b32 s3, vcc_lo, s63
	s_delay_alu instid0(SALU_CYCLE_1) | instskip(NEXT) | instid1(SALU_CYCLE_1)
	s_nor_b32 s3, s3, s0
	s_and_saveexec_b32 s67, s3
	s_cbranch_execz .LBB1_118
; %bb.117:                              ;   in Loop: Header=BB1_4 Depth=1
	v_cvt_f32_u32_e32 v13, v4
	v_cmp_eq_u32_e64 s3, v8, v5
	v_cmp_eq_u32_e64 s4, v8, v6
	s_delay_alu instid0(VALU_DEP_3) | instskip(SKIP_2) | instid1(VALU_DEP_1)
	v_dual_sub_f32 v12, v7, v12 :: v_dual_sub_f32 v13, v13, v3
	s_and_b32 s5, s1, s3
	s_and_b32 s3, s2, s3
	v_dual_mul_f32 v8, v11, v12 :: v_dual_mul_f32 v12, v9, v12
	s_delay_alu instid0(VALU_DEP_2) | instskip(NEXT) | instid1(VALU_DEP_1)
	v_dual_mul_f32 v14, v11, v13 :: v_dual_mul_f32 v13, v9, v13
	v_cndmask_b32_e64 v14, 0, v14, s5
	s_and_b32 s5, s1, s4
	s_delay_alu instid0(VALU_DEP_1) | instid1(SALU_CYCLE_1)
	v_cndmask_b32_e64 v8, v14, v8, s5
	s_delay_alu instid0(VALU_DEP_1)
	v_cndmask_b32_e64 v8, v8, v13, s3
	s_and_b32 s3, s2, s4
	s_delay_alu instid0(VALU_DEP_1) | instid1(SALU_CYCLE_1)
	v_cndmask_b32_e64 v13, v8, v12, s3
.LBB1_118:                              ;   in Loop: Header=BB1_4 Depth=1
	s_or_b32 exec_lo, exec_lo, s67
	s_delay_alu instid0(VALU_DEP_1)
	v_mul_f32_e32 v8, v0, v13
	global_atomic_add_f32 v10, v8, s[30:31] offset:-4 scale_offset scope:SCOPE_DEV
.LBB1_119:                              ;   in Loop: Header=BB1_4 Depth=1
	s_wait_xcnt 0x0
	s_or_b32 exec_lo, exec_lo, s66
	v_cmp_gt_i32_e64 s3, 0, v4
	v_cmp_le_i32_e64 s4, s10, v4
	s_or_b32 s3, s3, s4
	s_delay_alu instid0(SALU_CYCLE_1) | instskip(NEXT) | instid1(SALU_CYCLE_1)
	s_nor_b32 s3, s3, s65
	s_and_saveexec_b32 s66, s3
	s_cbranch_execz .LBB1_124
; %bb.120:                              ;   in Loop: Header=BB1_4 Depth=1
	v_cvt_f32_u32_e32 v8, v4
	s_delay_alu instid0(VALU_DEP_1) | instskip(NEXT) | instid1(VALU_DEP_1)
	v_sub_f32_e32 v12, v3, v8
	v_cmp_lt_f32_e64 s3, |v12|, 1.0
	s_and_b32 exec_lo, exec_lo, s3
	s_cbranch_execz .LBB1_124
; %bb.121:                              ;   in Loop: Header=BB1_4 Depth=1
	v_mov_b32_e32 v12, 0
	s_or_b32 s3, vcc_lo, s63
	s_delay_alu instid0(SALU_CYCLE_1) | instskip(NEXT) | instid1(SALU_CYCLE_1)
	s_nor_b32 s3, s3, s0
	s_and_saveexec_b32 s67, s3
	s_cbranch_execz .LBB1_123
; %bb.122:                              ;   in Loop: Header=BB1_4 Depth=1
	v_cmp_eq_u32_e64 s3, v4, v5
	v_cmp_eq_u32_e64 s4, v6, v4
	v_sub_f32_e32 v8, v7, v8
	s_and_b32 s5, s1, s3
	v_add_nc_u32_e32 v12, 1, v4
	s_and_b32 s3, s2, s3
	s_delay_alu instid0(VALU_DEP_2) | instskip(NEXT) | instid1(VALU_DEP_2)
	v_dual_mul_f32 v14, v11, v8 :: v_dual_mul_f32 v8, v9, v8
	v_cvt_f32_u32_e32 v12, v12
	s_delay_alu instid0(VALU_DEP_1) | instskip(NEXT) | instid1(VALU_DEP_1)
	v_sub_f32_e32 v12, v12, v3
	v_dual_mul_f32 v13, v11, v12 :: v_dual_mul_f32 v12, v9, v12
	s_delay_alu instid0(VALU_DEP_1)
	v_cndmask_b32_e64 v13, 0, v13, s5
	s_and_b32 s5, s1, s4
	s_delay_alu instid0(VALU_DEP_1) | instid1(SALU_CYCLE_1)
	v_cndmask_b32_e64 v13, v13, v14, s5
	s_delay_alu instid0(VALU_DEP_1)
	v_cndmask_b32_e64 v12, v13, v12, s3
	s_and_b32 s3, s2, s4
	s_delay_alu instid0(VALU_DEP_1) | instid1(SALU_CYCLE_1)
	v_cndmask_b32_e64 v12, v12, v8, s3
.LBB1_123:                              ;   in Loop: Header=BB1_4 Depth=1
	s_or_b32 exec_lo, exec_lo, s67
	s_delay_alu instid0(VALU_DEP_1)
	v_mul_f32_e32 v8, v0, v12
	global_atomic_add_f32 v10, v8, s[30:31] scale_offset scope:SCOPE_DEV
.LBB1_124:                              ;   in Loop: Header=BB1_4 Depth=1
	s_wait_xcnt 0x0
	s_or_b32 exec_lo, exec_lo, s66
	v_add_nc_u32_e32 v8, 1, v4
	v_cmp_gt_i32_e64 s3, -1, v4
	s_delay_alu instid0(VALU_DEP_2) | instskip(SKIP_1) | instid1(SALU_CYCLE_1)
	v_cmp_le_i32_e64 s4, s10, v8
	s_or_b32 s3, s3, s4
	s_nor_b32 s3, s3, s65
	s_delay_alu instid0(SALU_CYCLE_1)
	s_and_saveexec_b32 s66, s3
	s_cbranch_execz .LBB1_129
; %bb.125:                              ;   in Loop: Header=BB1_4 Depth=1
	v_cvt_f32_u32_e32 v12, v8
	s_delay_alu instid0(VALU_DEP_1) | instskip(NEXT) | instid1(VALU_DEP_1)
	v_sub_f32_e32 v13, v3, v12
	v_cmp_lt_f32_e64 s3, |v13|, 1.0
	s_and_b32 exec_lo, exec_lo, s3
	s_cbranch_execz .LBB1_129
; %bb.126:                              ;   in Loop: Header=BB1_4 Depth=1
	v_mov_b32_e32 v13, 0
	s_or_b32 s3, vcc_lo, s63
	s_delay_alu instid0(SALU_CYCLE_1) | instskip(NEXT) | instid1(SALU_CYCLE_1)
	s_nor_b32 s3, s3, s0
	s_and_saveexec_b32 s67, s3
	s_cbranch_execz .LBB1_128
; %bb.127:                              ;   in Loop: Header=BB1_4 Depth=1
	v_sub_f32_e32 v12, v7, v12
	v_cmp_eq_u32_e64 s3, v8, v5
	v_cmp_eq_u32_e64 s4, v4, v5
	s_and_b32 s5, s1, s3
	s_and_b32 s3, s2, s3
	v_mul_f32_e32 v14, v11, v12
	v_add_nc_u32_e32 v13, 2, v4
	s_delay_alu instid0(VALU_DEP_1) | instskip(NEXT) | instid1(VALU_DEP_1)
	v_cvt_f32_u32_e32 v13, v13
	v_sub_f32_e32 v13, v13, v3
	s_delay_alu instid0(VALU_DEP_1) | instskip(NEXT) | instid1(VALU_DEP_1)
	v_mul_f32_e32 v8, v11, v13
	v_cndmask_b32_e64 v8, 0, v8, s5
	s_and_b32 s5, s1, s4
	v_dual_mul_f32 v13, v9, v13 :: v_dual_mul_f32 v12, v9, v12
	s_delay_alu instid0(VALU_DEP_2) | instskip(NEXT) | instid1(VALU_DEP_1)
	v_cndmask_b32_e64 v8, v8, v14, s5
	v_cndmask_b32_e64 v8, v8, v13, s3
	s_and_b32 s3, s2, s4
	s_delay_alu instid0(VALU_DEP_1) | instid1(SALU_CYCLE_1)
	v_cndmask_b32_e64 v13, v8, v12, s3
.LBB1_128:                              ;   in Loop: Header=BB1_4 Depth=1
	s_or_b32 exec_lo, exec_lo, s67
	s_delay_alu instid0(VALU_DEP_1)
	v_mul_f32_e32 v8, v0, v13
	global_atomic_add_f32 v10, v8, s[30:31] offset:4 scale_offset scope:SCOPE_DEV
.LBB1_129:                              ;   in Loop: Header=BB1_4 Depth=1
	s_wait_xcnt 0x0
	s_or_b32 exec_lo, exec_lo, s66
	v_add_nc_u32_e32 v8, 2, v4
	v_cmp_gt_i32_e64 s3, -2, v4
	s_delay_alu instid0(VALU_DEP_2) | instskip(SKIP_1) | instid1(SALU_CYCLE_1)
	v_cmp_le_i32_e64 s4, s10, v8
	s_or_b32 s3, s3, s4
	s_nor_b32 s3, s3, s65
	s_delay_alu instid0(SALU_CYCLE_1)
	s_and_b32 exec_lo, exec_lo, s3
	s_cbranch_execz .LBB1_3
; %bb.130:                              ;   in Loop: Header=BB1_4 Depth=1
	v_cvt_f32_u32_e32 v12, v8
	s_delay_alu instid0(VALU_DEP_1) | instskip(NEXT) | instid1(VALU_DEP_1)
	v_sub_f32_e32 v13, v3, v12
	v_cmp_lt_f32_e64 s3, |v13|, 1.0
	s_and_b32 exec_lo, exec_lo, s3
	s_cbranch_execz .LBB1_3
; %bb.131:                              ;   in Loop: Header=BB1_4 Depth=1
	v_mov_b32_e32 v13, 0
	s_or_b32 s3, vcc_lo, s63
	s_delay_alu instid0(SALU_CYCLE_1) | instskip(NEXT) | instid1(SALU_CYCLE_1)
	s_nor_b32 s0, s3, s0
	s_and_saveexec_b32 s4, s0
	s_cbranch_execz .LBB1_2
; %bb.132:                              ;   in Loop: Header=BB1_4 Depth=1
	v_add_nc_u32_e32 v4, 3, v4
	v_cmp_eq_u32_e32 vcc_lo, v8, v5
	v_cmp_eq_u32_e64 s0, v8, v6
	s_delay_alu instid0(VALU_DEP_3) | instskip(SKIP_3) | instid1(VALU_DEP_1)
	v_cvt_f32_u32_e32 v4, v4
	s_and_b32 s3, s1, vcc_lo
	s_and_b32 s1, s1, s0
	s_and_b32 vcc_lo, s2, vcc_lo
	v_dual_sub_f32 v3, v4, v3 :: v_dual_sub_f32 v4, v7, v12
	s_delay_alu instid0(VALU_DEP_1) | instskip(SKIP_1) | instid1(VALU_DEP_2)
	v_dual_mul_f32 v5, v11, v3 :: v_dual_mul_f32 v6, v11, v4
	v_dual_mul_f32 v3, v9, v3 :: v_dual_mul_f32 v4, v9, v4
	v_cndmask_b32_e64 v5, 0, v5, s3
	s_delay_alu instid0(VALU_DEP_1) | instskip(NEXT) | instid1(VALU_DEP_1)
	v_cndmask_b32_e64 v5, v5, v6, s1
	v_cndmask_b32_e32 v3, v5, v3, vcc_lo
	s_and_b32 vcc_lo, s2, s0
	s_delay_alu instid0(VALU_DEP_1)
	v_cndmask_b32_e32 v13, v3, v4, vcc_lo
	s_branch .LBB1_2
.LBB1_133:
	s_endpgm
	.section	.rodata,"a",@progbits
	.p2align	6, 0x0
	.amdhsa_kernel _Z38modulated_deformable_col2im_gpu_kerneliPKfS0_S0_iiiiiiiiiiiiiiiiPf
		.amdhsa_group_segment_fixed_size 0
		.amdhsa_private_segment_fixed_size 0
		.amdhsa_kernarg_size 360
		.amdhsa_user_sgpr_count 2
		.amdhsa_user_sgpr_dispatch_ptr 0
		.amdhsa_user_sgpr_queue_ptr 0
		.amdhsa_user_sgpr_kernarg_segment_ptr 1
		.amdhsa_user_sgpr_dispatch_id 0
		.amdhsa_user_sgpr_kernarg_preload_length 0
		.amdhsa_user_sgpr_kernarg_preload_offset 0
		.amdhsa_user_sgpr_private_segment_size 0
		.amdhsa_wavefront_size32 1
		.amdhsa_uses_dynamic_stack 0
		.amdhsa_enable_private_segment 0
		.amdhsa_system_sgpr_workgroup_id_x 1
		.amdhsa_system_sgpr_workgroup_id_y 0
		.amdhsa_system_sgpr_workgroup_id_z 0
		.amdhsa_system_sgpr_workgroup_info 0
		.amdhsa_system_vgpr_workitem_id 0
		.amdhsa_next_free_vgpr 24
		.amdhsa_next_free_sgpr 68
		.amdhsa_named_barrier_count 0
		.amdhsa_reserve_vcc 1
		.amdhsa_float_round_mode_32 0
		.amdhsa_float_round_mode_16_64 0
		.amdhsa_float_denorm_mode_32 3
		.amdhsa_float_denorm_mode_16_64 3
		.amdhsa_fp16_overflow 0
		.amdhsa_memory_ordered 1
		.amdhsa_forward_progress 1
		.amdhsa_inst_pref_size 64
		.amdhsa_round_robin_scheduling 0
		.amdhsa_exception_fp_ieee_invalid_op 0
		.amdhsa_exception_fp_denorm_src 0
		.amdhsa_exception_fp_ieee_div_zero 0
		.amdhsa_exception_fp_ieee_overflow 0
		.amdhsa_exception_fp_ieee_underflow 0
		.amdhsa_exception_fp_ieee_inexact 0
		.amdhsa_exception_int_div_zero 0
	.end_amdhsa_kernel
	.text
.Lfunc_end1:
	.size	_Z38modulated_deformable_col2im_gpu_kerneliPKfS0_S0_iiiiiiiiiiiiiiiiPf, .Lfunc_end1-_Z38modulated_deformable_col2im_gpu_kerneliPKfS0_S0_iiiiiiiiiiiiiiiiPf
                                        ; -- End function
	.set _Z38modulated_deformable_col2im_gpu_kerneliPKfS0_S0_iiiiiiiiiiiiiiiiPf.num_vgpr, 24
	.set _Z38modulated_deformable_col2im_gpu_kerneliPKfS0_S0_iiiiiiiiiiiiiiiiPf.num_agpr, 0
	.set _Z38modulated_deformable_col2im_gpu_kerneliPKfS0_S0_iiiiiiiiiiiiiiiiPf.numbered_sgpr, 68
	.set _Z38modulated_deformable_col2im_gpu_kerneliPKfS0_S0_iiiiiiiiiiiiiiiiPf.num_named_barrier, 0
	.set _Z38modulated_deformable_col2im_gpu_kerneliPKfS0_S0_iiiiiiiiiiiiiiiiPf.private_seg_size, 0
	.set _Z38modulated_deformable_col2im_gpu_kerneliPKfS0_S0_iiiiiiiiiiiiiiiiPf.uses_vcc, 1
	.set _Z38modulated_deformable_col2im_gpu_kerneliPKfS0_S0_iiiiiiiiiiiiiiiiPf.uses_flat_scratch, 0
	.set _Z38modulated_deformable_col2im_gpu_kerneliPKfS0_S0_iiiiiiiiiiiiiiiiPf.has_dyn_sized_stack, 0
	.set _Z38modulated_deformable_col2im_gpu_kerneliPKfS0_S0_iiiiiiiiiiiiiiiiPf.has_recursion, 0
	.set _Z38modulated_deformable_col2im_gpu_kerneliPKfS0_S0_iiiiiiiiiiiiiiiiPf.has_indirect_call, 0
	.section	.AMDGPU.csdata,"",@progbits
; Kernel info:
; codeLenInByte = 8192
; TotalNumSgprs: 70
; NumVgprs: 24
; ScratchSize: 0
; MemoryBound: 0
; FloatMode: 240
; IeeeMode: 1
; LDSByteSize: 0 bytes/workgroup (compile time only)
; SGPRBlocks: 0
; VGPRBlocks: 1
; NumSGPRsForWavesPerEU: 70
; NumVGPRsForWavesPerEU: 24
; NamedBarCnt: 0
; Occupancy: 16
; WaveLimiterHint : 1
; COMPUTE_PGM_RSRC2:SCRATCH_EN: 0
; COMPUTE_PGM_RSRC2:USER_SGPR: 2
; COMPUTE_PGM_RSRC2:TRAP_HANDLER: 0
; COMPUTE_PGM_RSRC2:TGID_X_EN: 1
; COMPUTE_PGM_RSRC2:TGID_Y_EN: 0
; COMPUTE_PGM_RSRC2:TGID_Z_EN: 0
; COMPUTE_PGM_RSRC2:TIDIG_COMP_CNT: 0
	.text
	.protected	_Z44modulated_deformable_col2im_coord_gpu_kerneliPKfS0_S0_S0_iiiiiiiiiiiiiiiiiPfS1_ ; -- Begin function _Z44modulated_deformable_col2im_coord_gpu_kerneliPKfS0_S0_S0_iiiiiiiiiiiiiiiiiPfS1_
	.globl	_Z44modulated_deformable_col2im_coord_gpu_kerneliPKfS0_S0_S0_iiiiiiiiiiiiiiiiiPfS1_
	.p2align	8
	.type	_Z44modulated_deformable_col2im_coord_gpu_kerneliPKfS0_S0_S0_iiiiiiiiiiiiiiiiiPfS1_,@function
_Z44modulated_deformable_col2im_coord_gpu_kerneliPKfS0_S0_S0_iiiiiiiiiiiiiiiiiPfS1_: ; @_Z44modulated_deformable_col2im_coord_gpu_kerneliPKfS0_S0_S0_iiiiiiiiiiiiiiiiiPfS1_
; %bb.0:
	s_clause 0x1
	s_load_b32 s2, s[0:1], 0x8c
	s_load_b32 s3, s[0:1], 0x0
	s_bfe_u32 s4, ttmp6, 0x4000c
	s_and_b32 s5, ttmp6, 15
	s_add_co_i32 s4, s4, 1
	s_getreg_b32 s6, hwreg(HW_REG_IB_STS2, 6, 4)
	s_mul_i32 s4, ttmp9, s4
	s_mov_b32 s35, 0
	s_add_co_i32 s5, s5, s4
	s_wait_kmcnt 0x0
	s_and_b32 s2, s2, 0xffff
	s_cmp_eq_u32 s6, 0
	s_cselect_b32 s4, ttmp9, s5
	s_delay_alu instid0(SALU_CYCLE_1) | instskip(SKIP_1) | instid1(VALU_DEP_1)
	v_mad_u32 v24, s4, s2, v0
	s_mov_b32 s4, exec_lo
	v_cmpx_gt_i32_e64 s3, v24
	s_cbranch_execz .LBB2_47
; %bb.1:
	s_load_b512 s[4:19], s[0:1], 0x2c
	s_add_nc_u64 s[36:37], s[0:1], 0x80
	s_clause 0x1
	s_load_b256 s[20:27], s[0:1], 0x8
	s_load_b128 s[28:31], s[0:1], 0x70
	s_load_b32 s61, s[36:37], 0x0
	s_wait_xcnt 0x0
	s_mov_b32 s37, s35
	s_mov_b32 s41, s35
	;; [unrolled: 1-line block ×3, first 2 shown]
	v_mov_b32_e32 v3, 1.0
	s_wait_kmcnt 0x0
	s_abs_i32 s55, s19
	s_abs_i32 s57, s18
	s_cvt_f32_u32 s1, s55
	s_mov_b32 s52, s8
	s_cvt_f32_u32 s8, s57
	s_mul_i32 s0, s19, s14
	v_rcp_iflag_f32_e32 v0, s1
	s_abs_i32 s59, s16
	v_rcp_iflag_f32_e32 v1, s8
	s_mul_i32 s62, s0, s15
	s_mov_b32 s51, s9
	s_cvt_f32_u32 s9, s59
	s_mov_b32 s54, s10
	v_readfirstlane_b32 s0, v0
	s_lshl_b32 s60, s7, 1
	v_readfirstlane_b32 s10, v1
	v_rcp_iflag_f32_e32 v0, s9
	s_mul_i32 s1, s60, s18
	s_mul_f32 s0, s0, 0x4f7ffffe
	s_mul_i32 s64, s1, s19
	s_mul_f32 s1, s10, 0x4f7ffffe
	s_mul_i32 s61, s61, s2
	s_cvt_u32_f32 s0, s0
	s_sub_co_i32 s2, 0, s55
	s_mul_i32 s60, s60, s6
	v_nop
	v_readfirstlane_b32 s9, v0
	s_mul_i32 s2, s2, s0
	s_cvt_u32_f32 s1, s1
	s_abs_i32 s63, s60
	s_mul_hi_u32 s2, s0, s2
	s_sub_co_i32 s8, 0, s57
	s_add_co_i32 s34, s0, s2
	s_cvt_f32_u32 s0, s63
	s_mul_i32 s8, s8, s1
	s_mul_f32 s9, s9, 0x4f7ffffe
	s_mul_hi_u32 s2, s1, s8
	s_abs_i32 s65, s6
	v_rcp_iflag_f32_e32 v0, s0
	s_add_co_i32 s8, s1, s2
	s_cvt_u32_f32 s0, s9
	s_cvt_f32_u32 s1, s65
	s_sub_co_i32 s2, 0, s59
	s_abs_i32 s67, s7
	s_mul_i32 s2, s2, s0
	v_rcp_iflag_f32_e32 v1, s1
	v_nop
	v_readfirstlane_b32 s1, v0
	s_mul_hi_u32 s2, s0, s2
	s_abs_i32 s69, s15
	s_add_co_i32 s10, s0, s2
	s_cvt_f32_u32 s2, s67
	s_mul_f32 s0, s1, 0x4f7ffffe
	v_readfirstlane_b32 s1, v1
	s_mov_b32 s50, s12
	v_rcp_iflag_f32_e32 v0, s2
	s_cvt_f32_u32 s2, s69
	s_cvt_u32_f32 s0, s0
	s_mul_f32 s1, s1, 0x4f7ffffe
	s_sub_co_i32 s12, 0, s63
	v_rcp_iflag_f32_e32 v1, s2
	s_mul_i32 s12, s12, s0
	v_nop
	v_readfirstlane_b32 s2, v0
	s_cvt_u32_f32 s1, s1
	s_mov_b32 s49, s13
	s_mul_hi_u32 s12, s0, s12
	s_sub_co_i32 s13, 0, s65
	v_readfirstlane_b32 s38, v1
	s_add_co_i32 s12, s0, s12
	s_mul_i32 s0, s13, s1
	s_mul_f32 s2, s2, 0x4f7ffffe
	s_mul_hi_u32 s0, s1, s0
	s_sub_co_i32 s39, 0, s69
	s_add_co_i32 s36, s1, s0
	s_cvt_u32_f32 s0, s2
	s_mul_f32 s1, s38, 0x4f7ffffe
	s_sub_co_i32 s2, 0, s67
	s_mul_i32 s45, s19, s18
	s_mul_i32 s2, s2, s0
	s_cvt_u32_f32 s1, s1
	s_mul_hi_u32 s2, s0, s2
	v_mov_b32_e32 v1, 0
	s_add_co_i32 s38, s0, s2
	s_mul_i32 s0, s39, s1
	s_mul_i32 s33, s7, s6
	s_mul_hi_u32 s0, s1, s0
	s_cvt_f32_i32 s46, s4
	s_cvt_f32_i32 s47, s5
	s_add_co_i32 s40, s1, s0
	s_mul_i32 s0, s45, s15
	s_mul_i32 s44, s5, s4
	s_add_co_i32 s48, s5, -1
	s_add_co_i32 s4, s4, -1
	s_mov_b32 s53, s11
	s_ashr_i32 s56, s19, 31
	s_ashr_i32 s58, s18, 31
	s_mul_i32 s62, s62, s18
	s_mul_i32 s64, s64, s6
	s_mov_b32 s9, s35
	s_ashr_i32 s66, s16, 31
	s_mov_b32 s11, s35
	s_ashr_i32 s68, s60, 31
	;; [unrolled: 2-line block ×3, first 2 shown]
	s_ashr_i32 s70, s7, 31
	s_mov_b32 s39, s35
	s_ashr_i32 s71, s15, 31
	s_mul_i32 s72, s33, s0
	s_branch .LBB2_3
.LBB2_2:                                ;   in Loop: Header=BB2_3 Depth=1
	s_wait_xcnt 0x0
	s_or_b32 exec_lo, exec_lo, s0
	v_add_nc_u32_e32 v24, s61, v24
	s_delay_alu instid0(VALU_DEP_1) | instskip(SKIP_1) | instid1(SALU_CYCLE_1)
	v_cmp_le_i32_e32 vcc_lo, s3, v24
	s_or_b32 s73, vcc_lo, s73
	s_and_not1_b32 exec_lo, exec_lo, s73
	s_cbranch_execz .LBB2_47
.LBB2_3:                                ; =>This Loop Header: Depth=1
                                        ;     Child Loop BB2_8 Depth 2
	v_sub_nc_u32_e32 v0, 0, v24
	s_mov_b32 s74, exec_lo
	v_dual_mov_b32 v31, v1 :: v_dual_mov_b32 v30, v1
	s_delay_alu instid0(VALU_DEP_2) | instskip(NEXT) | instid1(VALU_DEP_1)
	v_max_i32_e32 v0, v24, v0
	v_mul_u64_e32 v[4:5], s[34:35], v[0:1]
	s_delay_alu instid0(VALU_DEP_1) | instskip(NEXT) | instid1(VALU_DEP_1)
	v_mul_lo_u32 v2, v5, s55
	v_dual_sub_nc_u32 v0, v0, v2 :: v_dual_add_nc_u32 v2, 1, v5
	s_delay_alu instid0(VALU_DEP_1) | instskip(NEXT) | instid1(VALU_DEP_2)
	v_cmp_le_u32_e32 vcc_lo, s55, v0
	v_dual_cndmask_b32 v2, v5, v2 :: v_dual_ashrrev_i32 v5, 31, v24
	v_subrev_nc_u32_e32 v4, s55, v0
	s_delay_alu instid0(VALU_DEP_1) | instskip(NEXT) | instid1(VALU_DEP_1)
	v_dual_cndmask_b32 v0, v0, v4, vcc_lo :: v_dual_add_nc_u32 v4, 1, v2
	v_cmp_le_u32_e32 vcc_lo, s55, v0
	s_delay_alu instid0(VALU_DEP_2) | instskip(NEXT) | instid1(VALU_DEP_1)
	v_dual_cndmask_b32 v0, v2, v4, vcc_lo :: v_dual_bitop2_b32 v5, s56, v5 bitop3:0x14
	v_xor_b32_e32 v0, v0, v5
	s_delay_alu instid0(VALU_DEP_1) | instskip(NEXT) | instid1(VALU_DEP_1)
	v_sub_nc_u32_e32 v25, v0, v5
	v_sub_nc_u32_e32 v0, 0, v25
	s_delay_alu instid0(VALU_DEP_1) | instskip(NEXT) | instid1(VALU_DEP_1)
	v_max_i32_e32 v0, v25, v0
	v_mul_u64_e32 v[4:5], s[8:9], v[0:1]
	s_delay_alu instid0(VALU_DEP_1) | instskip(NEXT) | instid1(VALU_DEP_1)
	v_mul_lo_u32 v2, v5, s57
	v_dual_sub_nc_u32 v0, v0, v2 :: v_dual_add_nc_u32 v2, 1, v5
	s_delay_alu instid0(VALU_DEP_1) | instskip(SKIP_1) | instid1(VALU_DEP_2)
	v_subrev_nc_u32_e32 v4, s57, v0
	v_cmp_le_u32_e32 vcc_lo, s57, v0
	v_dual_cndmask_b32 v2, v5, v2, vcc_lo :: v_dual_cndmask_b32 v0, v0, v4, vcc_lo
	s_delay_alu instid0(VALU_DEP_1) | instskip(NEXT) | instid1(VALU_DEP_2)
	v_dual_ashrrev_i32 v5, 31, v25 :: v_dual_add_nc_u32 v6, 1, v2
	v_cmp_le_u32_e32 vcc_lo, s57, v0
	s_delay_alu instid0(VALU_DEP_2) | instskip(NEXT) | instid1(VALU_DEP_1)
	v_dual_cndmask_b32 v0, v2, v6, vcc_lo :: v_dual_bitop2_b32 v4, s58, v5 bitop3:0x14
	v_xor_b32_e32 v2, v0, v4
	s_delay_alu instid0(VALU_DEP_1) | instskip(NEXT) | instid1(VALU_DEP_1)
	v_sub_nc_u32_e32 v26, v2, v4
	v_sub_nc_u32_e32 v0, 0, v26
	s_delay_alu instid0(VALU_DEP_1) | instskip(NEXT) | instid1(VALU_DEP_1)
	v_max_i32_e32 v0, v26, v0
	v_mul_u64_e32 v[6:7], s[10:11], v[0:1]
	s_delay_alu instid0(VALU_DEP_1) | instskip(NEXT) | instid1(VALU_DEP_1)
	v_mul_lo_u32 v5, v7, s59
	v_dual_sub_nc_u32 v0, v0, v5 :: v_dual_add_nc_u32 v5, 1, v7
	s_delay_alu instid0(VALU_DEP_1) | instskip(SKIP_1) | instid1(VALU_DEP_3)
	v_subrev_nc_u32_e32 v6, s59, v0
	v_cmp_le_u32_e32 vcc_lo, s59, v0
	v_dual_cndmask_b32 v7, v7, v5, vcc_lo :: v_dual_ashrrev_i32 v5, 31, v26
	s_delay_alu instid0(VALU_DEP_1) | instskip(NEXT) | instid1(VALU_DEP_1)
	v_dual_cndmask_b32 v0, v0, v6, vcc_lo :: v_dual_add_nc_u32 v6, 1, v7
	v_cmp_le_u32_e32 vcc_lo, s59, v0
	s_delay_alu instid0(VALU_DEP_2) | instskip(NEXT) | instid1(VALU_DEP_1)
	v_dual_cndmask_b32 v0, v7, v6, vcc_lo :: v_dual_bitop2_b32 v5, s66, v5 bitop3:0x14
	v_xor_b32_e32 v6, v0, v5
	s_delay_alu instid0(VALU_DEP_1) | instskip(NEXT) | instid1(VALU_DEP_1)
	v_sub_nc_u32_e32 v10, v6, v5
	v_mul_lo_u32 v0, v10, s16
	s_delay_alu instid0(VALU_DEP_1) | instskip(NEXT) | instid1(VALU_DEP_1)
	v_sub_nc_u32_e32 v27, v26, v0
	v_sub_nc_u32_e32 v0, 0, v27
	s_delay_alu instid0(VALU_DEP_1) | instskip(NEXT) | instid1(VALU_DEP_1)
	v_max_i32_e32 v0, v27, v0
	v_mul_u64_e32 v[8:9], s[12:13], v[0:1]
	s_delay_alu instid0(VALU_DEP_1) | instskip(NEXT) | instid1(VALU_DEP_1)
	v_mul_lo_u32 v7, v9, s63
	v_dual_sub_nc_u32 v0, v0, v7 :: v_dual_add_nc_u32 v7, 1, v9
	s_delay_alu instid0(VALU_DEP_1) | instskip(NEXT) | instid1(VALU_DEP_2)
	v_cmp_le_u32_e32 vcc_lo, s63, v0
	v_cndmask_b32_e32 v7, v9, v7, vcc_lo
	v_subrev_nc_u32_e32 v8, s63, v0
	s_delay_alu instid0(VALU_DEP_1) | instskip(NEXT) | instid1(VALU_DEP_1)
	v_dual_cndmask_b32 v0, v0, v8 :: v_dual_ashrrev_i32 v9, 31, v27
	v_dual_add_nc_u32 v8, 1, v7 :: v_dual_bitop2_b32 v9, s68, v9 bitop3:0x14
	s_delay_alu instid0(VALU_DEP_2) | instskip(NEXT) | instid1(VALU_DEP_2)
	v_cmp_le_u32_e32 vcc_lo, s63, v0
	v_cndmask_b32_e32 v0, v7, v8, vcc_lo
	s_delay_alu instid0(VALU_DEP_1) | instskip(NEXT) | instid1(VALU_DEP_1)
	v_xor_b32_e32 v0, v0, v9
	v_sub_nc_u32_e32 v8, v0, v9
	s_delay_alu instid0(VALU_DEP_1) | instskip(NEXT) | instid1(VALU_DEP_1)
	v_mul_lo_u32 v0, s60, v8
	v_sub_nc_u32_e32 v7, v27, v0
	v_mad_u32 v9, v10, s17, v8
	s_delay_alu instid0(VALU_DEP_2) | instskip(NEXT) | instid1(VALU_DEP_1)
	v_lshrrev_b32_e32 v0, 31, v7
	v_add_nc_u32_e32 v0, v7, v0
	s_delay_alu instid0(VALU_DEP_3) | instskip(NEXT) | instid1(VALU_DEP_2)
	v_mul_lo_u32 v28, s33, v9
	v_ashrrev_i32_e32 v29, 1, v0
	s_delay_alu instid0(VALU_DEP_1)
	v_cmpx_gt_i32_e64 s14, v29
	s_cbranch_execz .LBB2_45
; %bb.4:                                ;   in Loop: Header=BB2_3 Depth=1
	v_mul_lo_u32 v12, v9, s14
	v_mul_lo_u32 v8, s62, v8
	s_mov_b32 s75, 0
	s_mov_b32 s42, 0
	v_dual_mov_b32 v31, 0 :: v_dual_mov_b32 v30, 0
	s_delay_alu instid0(VALU_DEP_3) | instskip(NEXT) | instid1(VALU_DEP_1)
	v_dual_mov_b32 v33, v29 :: v_dual_sub_nc_u32 v0, 0, v12
	v_max_i32_e32 v0, v12, v0
	s_delay_alu instid0(VALU_DEP_1) | instskip(NEXT) | instid1(VALU_DEP_1)
	v_mul_u64_e32 v[10:11], s[36:37], v[0:1]
	v_mul_lo_u32 v10, v11, s65
	s_delay_alu instid0(VALU_DEP_1) | instskip(NEXT) | instid1(VALU_DEP_1)
	v_dual_sub_nc_u32 v0, v0, v10 :: v_dual_add_nc_u32 v10, 1, v11
	v_cmp_le_u32_e32 vcc_lo, s65, v0
	s_delay_alu instid0(VALU_DEP_2) | instskip(SKIP_1) | instid1(VALU_DEP_1)
	v_dual_cndmask_b32 v10, v11, v10 :: v_dual_ashrrev_i32 v11, 31, v12
	v_subrev_nc_u32_e32 v13, s65, v0
	v_dual_add_nc_u32 v12, 1, v10 :: v_dual_cndmask_b32 v0, v0, v13, vcc_lo
	s_delay_alu instid0(VALU_DEP_1) | instskip(NEXT) | instid1(VALU_DEP_2)
	v_cmp_le_u32_e32 vcc_lo, s65, v0
	v_dual_cndmask_b32 v0, v10, v12, vcc_lo :: v_dual_bitop2_b32 v11, s6, v11 bitop3:0x14
	s_delay_alu instid0(VALU_DEP_1) | instskip(NEXT) | instid1(VALU_DEP_1)
	v_xor_b32_e32 v0, v0, v11
	v_sub_nc_u32_e32 v12, v0, v11
	s_delay_alu instid0(VALU_DEP_1) | instskip(NEXT) | instid1(VALU_DEP_1)
	v_sub_nc_u32_e32 v0, 0, v12
	v_max_i32_e32 v0, v12, v0
	s_delay_alu instid0(VALU_DEP_1) | instskip(NEXT) | instid1(VALU_DEP_1)
	v_mul_u64_e32 v[10:11], s[38:39], v[0:1]
	v_mul_lo_u32 v10, v11, s67
	s_delay_alu instid0(VALU_DEP_1) | instskip(NEXT) | instid1(VALU_DEP_1)
	v_dual_sub_nc_u32 v0, v0, v10 :: v_dual_add_nc_u32 v10, 1, v11
	v_subrev_nc_u32_e32 v13, s67, v0
	v_cmp_le_u32_e32 vcc_lo, s67, v0
	s_delay_alu instid0(VALU_DEP_3) | instskip(NEXT) | instid1(VALU_DEP_3)
	v_dual_cndmask_b32 v10, v11, v10 :: v_dual_ashrrev_i32 v11, 31, v12
	v_dual_cndmask_b32 v0, v0, v13, vcc_lo :: v_dual_add_nc_u32 v4, v6, v4
	s_delay_alu instid0(VALU_DEP_2) | instskip(NEXT) | instid1(VALU_DEP_2)
	v_dual_add_nc_u32 v12, 1, v10 :: v_dual_bitop2_b32 v6, s70, v11 bitop3:0x14
	v_cmp_le_u32_e32 vcc_lo, s67, v0
	s_delay_alu instid0(VALU_DEP_3) | instskip(NEXT) | instid1(VALU_DEP_3)
	v_mad_u32 v4, s15, v29, v4
	v_cndmask_b32_e32 v0, v10, v12, vcc_lo
	v_mul_lo_u32 v10, s64, v9
	v_mul_lo_u32 v12, s45, v28
	s_delay_alu instid0(VALU_DEP_4) | instskip(NEXT) | instid1(VALU_DEP_4)
	v_dual_ashrrev_i32 v9, 31, v8 :: v_dual_sub_nc_u32 v4, v4, v5
	v_xor_b32_e32 v0, v0, v6
	s_delay_alu instid0(VALU_DEP_2) | instskip(NEXT) | instid1(VALU_DEP_2)
	v_sub_nc_u32_e32 v2, v4, v2
	v_sub_nc_u32_e32 v0, v0, v6
	v_ashrrev_i32_e32 v11, 31, v10
	s_delay_alu instid0(VALU_DEP_3) | instskip(NEXT) | instid1(VALU_DEP_3)
	v_mad_u32 v4, s45, v2, v24
	v_mul_lo_u32 v14, s44, v0
	v_dual_lshlrev_b32 v0, 1, v29 :: v_dual_ashrrev_i32 v13, 31, v12
	s_delay_alu instid0(VALU_DEP_1) | instskip(SKIP_4) | instid1(VALU_DEP_2)
	v_sub_nc_u32_e32 v32, v7, v0
	v_lshl_add_u64 v[6:7], v[8:9], 2, s[20:21]
	v_lshl_add_u64 v[8:9], v[10:11], 2, s[24:25]
	v_ashrrev_i32_e32 v15, 31, v14
	v_lshl_add_u64 v[10:11], v[12:13], 2, s[26:27]
	v_lshl_add_u64 v[12:13], v[14:15], 2, s[22:23]
	s_branch .LBB2_8
.LBB2_5:                                ;   in Loop: Header=BB2_8 Depth=2
	s_or_b32 exec_lo, exec_lo, s0
.LBB2_6:                                ;   in Loop: Header=BB2_8 Depth=2
	s_delay_alu instid0(SALU_CYCLE_1)
	s_or_b32 exec_lo, exec_lo, s43
.LBB2_7:                                ;   in Loop: Header=BB2_8 Depth=2
	s_delay_alu instid0(SALU_CYCLE_1)
	s_or_b32 exec_lo, exec_lo, s2
	v_lshl_add_u64 v[14:15], v[4:5], 2, v[6:7]
	s_add_co_i32 s42, s42, s44
	v_add_nc_u32_e32 v4, s72, v4
	global_load_b32 v5, v[14:15], off
	s_wait_loadcnt 0x0
	v_mul_f32_e32 v2, v2, v5
	s_delay_alu instid0(VALU_DEP_1) | instskip(NEXT) | instid1(VALU_DEP_1)
	v_dual_add_nc_u32 v33, s33, v33 :: v_dual_fmac_f32 v31, v0, v2
	v_cmp_le_i32_e32 vcc_lo, s14, v33
	s_or_b32 s75, vcc_lo, s75
	s_wait_xcnt 0x0
	s_and_not1_b32 exec_lo, exec_lo, s75
	s_cbranch_execz .LBB2_44
.LBB2_8:                                ;   Parent Loop BB2_3 Depth=1
                                        ; =>  This Inner Loop Header: Depth=2
	v_dual_sub_nc_u32 v0, 0, v4 :: v_dual_ashrrev_i32 v5, 31, v4
	s_delay_alu instid0(VALU_DEP_1) | instskip(NEXT) | instid1(VALU_DEP_1)
	v_max_i32_e32 v0, v4, v0
	v_mul_u64_e32 v[14:15], s[34:35], v[0:1]
	s_delay_alu instid0(VALU_DEP_1) | instskip(NEXT) | instid1(VALU_DEP_1)
	v_mul_lo_u32 v2, v15, s55
	v_dual_sub_nc_u32 v0, v0, v2 :: v_dual_add_nc_u32 v2, 1, v15
	s_delay_alu instid0(VALU_DEP_1) | instskip(SKIP_1) | instid1(VALU_DEP_3)
	v_subrev_nc_u32_e32 v14, s55, v0
	v_cmp_le_u32_e32 vcc_lo, s55, v0
	v_cndmask_b32_e32 v2, v15, v2, vcc_lo
	s_delay_alu instid0(VALU_DEP_3) | instskip(NEXT) | instid1(VALU_DEP_2)
	v_dual_cndmask_b32 v16, v0, v14, vcc_lo :: v_dual_bitop2_b32 v14, s56, v5 bitop3:0x14
	v_add_nc_u32_e32 v0, 1, v2
	s_delay_alu instid0(VALU_DEP_2) | instskip(NEXT) | instid1(VALU_DEP_2)
	v_cmp_le_u32_e32 vcc_lo, s55, v16
	v_cndmask_b32_e32 v0, v2, v0, vcc_lo
	s_delay_alu instid0(VALU_DEP_1) | instskip(NEXT) | instid1(VALU_DEP_1)
	v_xor_b32_e32 v0, v0, v14
	v_sub_nc_u32_e32 v2, v0, v14
	s_delay_alu instid0(VALU_DEP_1) | instskip(NEXT) | instid1(VALU_DEP_1)
	v_sub_nc_u32_e32 v0, 0, v2
	v_max_i32_e32 v0, v2, v0
	s_delay_alu instid0(VALU_DEP_1) | instskip(NEXT) | instid1(VALU_DEP_1)
	v_mul_u64_e32 v[14:15], s[8:9], v[0:1]
	v_mul_lo_u32 v14, v15, s57
	s_delay_alu instid0(VALU_DEP_1) | instskip(SKIP_1) | instid1(VALU_DEP_2)
	v_dual_sub_nc_u32 v0, v0, v14 :: v_dual_add_nc_u32 v14, 1, v15
	v_ashrrev_i32_e32 v2, 31, v2
	v_subrev_nc_u32_e32 v17, s57, v0
	v_cmp_le_u32_e64 s0, s57, v0
	s_delay_alu instid0(VALU_DEP_1) | instskip(NEXT) | instid1(VALU_DEP_1)
	v_dual_cndmask_b32 v14, v15, v14, s0 :: v_dual_cndmask_b32 v17, v0, v17, s0
	v_add_nc_u32_e32 v0, 1, v14
	s_delay_alu instid0(VALU_DEP_2) | instskip(NEXT) | instid1(VALU_DEP_1)
	v_cmp_le_u32_e64 s0, s57, v17
	v_dual_cndmask_b32 v0, v14, v0, s0 :: v_dual_bitop2_b32 v15, s58, v2 bitop3:0x14
	s_delay_alu instid0(VALU_DEP_1) | instskip(NEXT) | instid1(VALU_DEP_1)
	v_xor_b32_e32 v0, v0, v15
	v_sub_nc_u32_e32 v18, v0, v15
	s_delay_alu instid0(VALU_DEP_1) | instskip(NEXT) | instid1(VALU_DEP_1)
	v_sub_nc_u32_e32 v0, 0, v18
	v_max_i32_e32 v0, v18, v0
	s_delay_alu instid0(VALU_DEP_1) | instskip(NEXT) | instid1(VALU_DEP_1)
	v_mul_u64_e32 v[14:15], s[40:41], v[0:1]
	v_mul_lo_u32 v14, v15, s69
	s_delay_alu instid0(VALU_DEP_1) | instskip(NEXT) | instid1(VALU_DEP_1)
	v_dual_sub_nc_u32 v0, v0, v14 :: v_dual_add_nc_u32 v14, 1, v15
	v_subrev_nc_u32_e32 v19, s69, v0
	v_cmp_le_u32_e64 s1, s69, v0
	s_delay_alu instid0(VALU_DEP_1) | instskip(SKIP_1) | instid1(VALU_DEP_2)
	v_dual_cndmask_b32 v14, v15, v14, s1 :: v_dual_cndmask_b32 v0, v0, v19, s1
	v_ashrrev_i32_e32 v15, 31, v18
	v_add_nc_u32_e32 v18, 1, v14
	s_delay_alu instid0(VALU_DEP_3) | instskip(NEXT) | instid1(VALU_DEP_1)
	v_cmp_le_u32_e64 s1, s69, v0
	v_dual_cndmask_b32 v0, v14, v18, s1 :: v_dual_bitop2_b32 v15, s71, v15 bitop3:0x14
	s_delay_alu instid0(VALU_DEP_1) | instskip(NEXT) | instid1(VALU_DEP_1)
	v_xor_b32_e32 v0, v0, v15
	v_sub_nc_u32_e32 v18, v0, v15
	s_delay_alu instid0(VALU_DEP_1) | instskip(NEXT) | instid1(VALU_DEP_1)
	v_sub_nc_u32_e32 v0, 0, v18
	v_max_i32_e32 v0, v18, v0
	s_delay_alu instid0(VALU_DEP_1) | instskip(NEXT) | instid1(VALU_DEP_1)
	v_mul_u64_e32 v[14:15], s[38:39], v[0:1]
	v_mul_lo_u32 v14, v15, s67
	s_delay_alu instid0(VALU_DEP_1) | instskip(SKIP_1) | instid1(VALU_DEP_2)
	v_dual_sub_nc_u32 v0, v0, v14 :: v_dual_add_nc_u32 v14, 1, v15
	v_ashrrev_i32_e32 v18, 31, v18
	v_subrev_nc_u32_e32 v19, s67, v0
	v_cmp_le_u32_e64 s1, s67, v0
	s_delay_alu instid0(VALU_DEP_1) | instskip(NEXT) | instid1(VALU_DEP_4)
	v_dual_cndmask_b32 v14, v15, v14, s1 :: v_dual_cndmask_b32 v19, v0, v19, s1
	v_xor_b32_e32 v15, s70, v18
	s_delay_alu instid0(VALU_DEP_2) | instskip(NEXT) | instid1(VALU_DEP_3)
	v_add_nc_u32_e32 v0, 1, v14
	v_cmp_le_u32_e64 s1, s67, v19
	s_delay_alu instid0(VALU_DEP_1) | instskip(NEXT) | instid1(VALU_DEP_1)
	v_cndmask_b32_e64 v0, v14, v0, s1
	v_xor_b32_e32 v0, v0, v15
	s_delay_alu instid0(VALU_DEP_1) | instskip(NEXT) | instid1(VALU_DEP_1)
	v_sub_nc_u32_e32 v20, v0, v15
	v_sub_nc_u32_e32 v0, 0, v20
	s_delay_alu instid0(VALU_DEP_1) | instskip(NEXT) | instid1(VALU_DEP_1)
	v_max_i32_e32 v0, v20, v0
	v_mul_u64_e32 v[14:15], s[36:37], v[0:1]
	s_delay_alu instid0(VALU_DEP_1) | instskip(NEXT) | instid1(VALU_DEP_1)
	v_mul_lo_u32 v14, v15, s65
	v_sub_nc_u32_e32 v0, v0, v14
	s_delay_alu instid0(VALU_DEP_1) | instskip(SKIP_1) | instid1(VALU_DEP_1)
	v_subrev_nc_u32_e32 v14, s65, v0
	v_cmp_le_u32_e64 s2, s65, v0
	v_cndmask_b32_e64 v0, v0, v14, s2
	v_subrev_nc_u32_e32 v14, s67, v19
	s_delay_alu instid0(VALU_DEP_2) | instskip(NEXT) | instid1(VALU_DEP_2)
	v_subrev_nc_u32_e32 v15, s65, v0
	v_cndmask_b32_e64 v14, v19, v14, s1
	v_cmp_le_u32_e64 s1, s65, v0
	s_delay_alu instid0(VALU_DEP_2) | instskip(NEXT) | instid1(VALU_DEP_1)
	v_dual_ashrrev_i32 v19, 31, v20 :: v_dual_bitop2_b32 v14, v14, v18 bitop3:0x14
	v_sub_nc_u32_e32 v18, v14, v18
	v_subrev_nc_u32_e32 v14, s57, v17
	s_delay_alu instid0(VALU_DEP_1) | instskip(SKIP_1) | instid1(VALU_DEP_2)
	v_dual_cndmask_b32 v14, v17, v14, s0 :: v_dual_cndmask_b32 v0, v0, v15, s1
	v_subrev_nc_u32_e32 v15, s55, v16
	v_xor_b32_e32 v14, v14, v2
	s_delay_alu instid0(VALU_DEP_3) | instskip(NEXT) | instid1(VALU_DEP_2)
	v_xor_b32_e32 v0, v0, v19
	v_dual_cndmask_b32 v15, v16, v15 :: v_dual_sub_nc_u32 v2, v14, v2
	s_delay_alu instid0(VALU_DEP_1) | instskip(NEXT) | instid1(VALU_DEP_1)
	v_dual_sub_nc_u32 v19, v0, v19 :: v_dual_bitop2_b32 v14, v15, v5 bitop3:0x14
	v_sub_nc_u32_e32 v20, v14, v5
	s_delay_alu instid0(VALU_DEP_2) | instskip(NEXT) | instid1(VALU_DEP_1)
	v_mad_u32 v0, v19, s7, v18
	v_mul_lo_u32 v0, v0, s18
	s_delay_alu instid0(VALU_DEP_1) | instskip(SKIP_1) | instid1(VALU_DEP_2)
	v_lshl_add_u32 v15, v0, 1, v2
	v_add_nc_u32_e32 v0, v0, v2
	v_mad_u32 v14, v15, s19, v20
	s_delay_alu instid0(VALU_DEP_1) | instskip(NEXT) | instid1(VALU_DEP_1)
	v_dual_add_nc_u32 v16, s18, v15 :: v_dual_ashrrev_i32 v15, 31, v14
	v_mad_u32 v16, v16, s19, v20
	s_delay_alu instid0(VALU_DEP_2) | instskip(NEXT) | instid1(VALU_DEP_2)
	v_lshl_add_u64 v[14:15], v[14:15], 2, v[8:9]
	v_ashrrev_i32_e32 v17, 31, v16
	s_delay_alu instid0(VALU_DEP_1)
	v_lshl_add_u64 v[16:17], v[16:17], 2, v[8:9]
	s_clause 0x1
	global_load_b32 v15, v[14:15], off
	global_load_b32 v14, v[16:17], off
	s_wait_xcnt 0x0
	v_mad_u32 v16, v0, s19, v20
	s_delay_alu instid0(VALU_DEP_1) | instskip(NEXT) | instid1(VALU_DEP_1)
	v_ashrrev_i32_e32 v17, 31, v16
	v_lshl_add_u64 v[16:17], v[16:17], 2, v[10:11]
	global_load_b32 v0, v[16:17], off
	s_wait_xcnt 0x0
	v_mul_lo_u32 v16, v18, s49
	v_mul_lo_u32 v17, v19, s50
	s_delay_alu instid0(VALU_DEP_2) | instskip(NEXT) | instid1(VALU_DEP_2)
	v_subrev_nc_u32_e32 v16, s51, v16
	v_subrev_nc_u32_e32 v17, s52, v17
	s_delay_alu instid0(VALU_DEP_2) | instskip(NEXT) | instid1(VALU_DEP_2)
	v_mad_u32 v16, v20, s53, v16
	v_mad_u32 v2, v2, s54, v17
	s_delay_alu instid0(VALU_DEP_2) | instskip(NEXT) | instid1(VALU_DEP_2)
	v_cvt_f32_i32_e32 v16, v16
	v_cvt_f32_i32_e32 v17, v2
	s_wait_loadcnt 0x1
	s_delay_alu instid0(VALU_DEP_1) | instskip(NEXT) | instid1(VALU_DEP_1)
	v_pk_add_f32 v[14:15], v[14:15], v[16:17]
	v_dual_max_num_f32 v2, v14, v14 :: v_dual_max_num_f32 v16, v15, v15
	v_cmp_le_f32_e32 vcc_lo, s46, v15
	v_cmp_le_f32_e64 s0, s47, v14
	s_delay_alu instid0(VALU_DEP_3) | instskip(SKIP_1) | instid1(VALU_DEP_1)
	v_min_num_f32_e32 v2, v16, v2
	s_or_b32 s0, vcc_lo, s0
	v_cmp_ge_f32_e64 s1, -1.0, v2
	s_or_b32 s0, s0, s1
	s_delay_alu instid0(SALU_CYCLE_1) | instskip(NEXT) | instid1(SALU_CYCLE_1)
	s_and_saveexec_b32 s1, s0
	s_xor_b32 s0, exec_lo, s1
; %bb.9:                                ;   in Loop: Header=BB2_8 Depth=2
	s_ashr_i32 s43, s42, 31
                                        ; implicit-def: $vgpr14_vgpr15
; %bb.10:                               ;   in Loop: Header=BB2_8 Depth=2
	s_or_saveexec_b32 s2, s0
	v_mov_b64_e32 v[16:17], s[42:43]
	v_dual_mov_b32 v20, -2.0 :: v_dual_mov_b32 v21, -2.0
	s_xor_b32 exec_lo, exec_lo, s2
	s_cbranch_execz .LBB2_20
; %bb.11:                               ;   in Loop: Header=BB2_8 Depth=2
	v_lshl_add_u64 v[16:17], v[4:5], 2, v[6:7]
	v_floor_f32_e32 v2, v15
	s_ashr_i32 s43, s42, 31
	s_delay_alu instid0(SALU_CYCLE_1)
	v_lshl_add_u64 v[20:21], s[42:43], 2, v[12:13]
	global_load_b32 v34, v[16:17], off
	s_wait_xcnt 0x0
	v_floor_f32_e32 v16, v14
	v_cvt_i32_f32_e32 v2, v2
	v_mov_b32_e32 v17, 0
	s_delay_alu instid0(VALU_DEP_3) | instskip(NEXT) | instid1(VALU_DEP_3)
	v_cvt_i32_f32_e32 v18, v16
	v_cmp_lt_i32_e64 s1, -1, v2
	s_delay_alu instid0(VALU_DEP_2) | instskip(SKIP_1) | instid1(VALU_DEP_2)
	v_or_b32_e32 v16, v2, v18
	v_cmp_lt_i32_e32 vcc_lo, -1, v18
	v_cmp_lt_i32_e64 s0, -1, v16
	v_mov_b32_e32 v16, 0
	s_and_saveexec_b32 s76, s0
	s_cbranch_execz .LBB2_13
; %bb.12:                               ;   in Loop: Header=BB2_8 Depth=2
	v_mad_u32 v22, s5, v2, v18
	s_delay_alu instid0(VALU_DEP_1) | instskip(NEXT) | instid1(VALU_DEP_1)
	v_ashrrev_i32_e32 v23, 31, v22
	v_lshl_add_u64 v[22:23], v[22:23], 2, v[20:21]
	global_load_b32 v16, v[22:23], off
.LBB2_13:                               ;   in Loop: Header=BB2_8 Depth=2
	s_wait_xcnt 0x0
	s_or_b32 exec_lo, exec_lo, s76
	v_cmp_gt_i32_e64 s0, s48, v18
	v_ashrrev_i32_e32 v19, 31, v18
	s_and_b32 s76, s1, s0
	s_delay_alu instid0(SALU_CYCLE_1)
	s_and_saveexec_b32 s1, s76
	s_cbranch_execz .LBB2_15
; %bb.14:                               ;   in Loop: Header=BB2_8 Depth=2
	v_mul_lo_u32 v22, s5, v2
	s_delay_alu instid0(VALU_DEP_1) | instskip(NEXT) | instid1(VALU_DEP_1)
	v_ashrrev_i32_e32 v23, 31, v22
	v_add_nc_u64_e32 v[22:23], v[22:23], v[18:19]
	s_delay_alu instid0(VALU_DEP_1)
	v_lshl_add_u64 v[22:23], v[22:23], 2, v[20:21]
	global_load_b32 v17, v[22:23], off offset:4
.LBB2_15:                               ;   in Loop: Header=BB2_8 Depth=2
	s_wait_xcnt 0x0
	s_or_b32 exec_lo, exec_lo, s1
	v_cmp_gt_i32_e64 s1, s4, v2
	v_dual_mov_b32 v22, 0 :: v_dual_add_nc_u32 v35, 1, v2
	v_mov_b32_e32 v23, 0
	s_and_b32 s77, s1, vcc_lo
	s_delay_alu instid0(SALU_CYCLE_1)
	s_and_saveexec_b32 s76, s77
	s_cbranch_execz .LBB2_17
; %bb.16:                               ;   in Loop: Header=BB2_8 Depth=2
	v_mad_u32 v36, v35, s5, v18
	s_delay_alu instid0(VALU_DEP_1) | instskip(NEXT) | instid1(VALU_DEP_1)
	v_ashrrev_i32_e32 v37, 31, v36
	v_lshl_add_u64 v[36:37], v[36:37], 2, v[20:21]
	global_load_b32 v23, v[36:37], off
.LBB2_17:                               ;   in Loop: Header=BB2_8 Depth=2
	s_wait_xcnt 0x0
	s_or_b32 exec_lo, exec_lo, s76
	s_and_b32 s1, s1, s0
	s_delay_alu instid0(SALU_CYCLE_1)
	s_and_saveexec_b32 s0, s1
	s_cbranch_execz .LBB2_19
; %bb.18:                               ;   in Loop: Header=BB2_8 Depth=2
	v_mul_lo_u32 v36, v35, s5
	s_delay_alu instid0(VALU_DEP_1) | instskip(NEXT) | instid1(VALU_DEP_1)
	v_ashrrev_i32_e32 v37, 31, v36
	v_add_nc_u64_e32 v[36:37], v[36:37], v[18:19]
	s_delay_alu instid0(VALU_DEP_1)
	v_lshl_add_u64 v[20:21], v[36:37], 2, v[20:21]
	global_load_b32 v22, v[20:21], off offset:4
.LBB2_19:                               ;   in Loop: Header=BB2_8 Depth=2
	s_wait_xcnt 0x0
	s_or_b32 exec_lo, exec_lo, s0
	v_cvt_f32_i32_e32 v19, v2
	v_cvt_f32_i32_e32 v18, v18
	v_mov_b32_e32 v2, v15
	s_delay_alu instid0(VALU_DEP_2) | instskip(NEXT) | instid1(VALU_DEP_1)
	v_pk_add_f32 v[20:21], v[14:15], v[18:19] neg_lo:[0,1] neg_hi:[0,1]
	v_dual_mov_b32 v18, v19 :: v_dual_mov_b32 v19, v20
	s_delay_alu instid0(VALU_DEP_1) | instskip(NEXT) | instid1(VALU_DEP_3)
	v_pk_add_f32 v[18:19], v[2:3], v[18:19] neg_lo:[0,1] neg_hi:[0,1]
	v_dual_sub_f32 v2, 1.0, v21 :: v_dual_mov_b32 v37, v20
	s_delay_alu instid0(VALU_DEP_2) | instskip(NEXT) | instid1(VALU_DEP_3)
	v_mov_b32_e32 v36, v19
	v_pk_mul_f32 v[18:19], v[20:21], v[18:19]
	v_dual_mov_b32 v21, v14 :: v_dual_mov_b32 v20, v15
	s_delay_alu instid0(VALU_DEP_3) | instskip(SKIP_1) | instid1(VALU_DEP_3)
	v_pk_mul_f32 v[36:37], v[36:37], v[2:3] op_sel_hi:[1,0]
	s_wait_loadcnt 0x0
	v_pk_mul_f32 v[18:19], v[18:19], v[22:23]
	s_delay_alu instid0(VALU_DEP_2) | instskip(NEXT) | instid1(VALU_DEP_1)
	v_pk_mul_f32 v[16:17], v[36:37], v[16:17]
	v_add_f32_e32 v2, v16, v17
	v_mov_b64_e32 v[16:17], s[42:43]
	s_delay_alu instid0(VALU_DEP_2) | instskip(NEXT) | instid1(VALU_DEP_1)
	v_add_f32_e32 v2, v2, v19
	v_add_f32_e32 v2, v2, v18
	s_delay_alu instid0(VALU_DEP_1)
	v_fmac_f32_e32 v30, v34, v2
.LBB2_20:                               ;   in Loop: Header=BB2_8 Depth=2
	s_or_b32 exec_lo, exec_lo, s2
	v_mov_b32_e32 v2, 0
	s_mov_b32 s2, exec_lo
	v_cmpx_nge_f32_e32 -1.0, v20
	s_cbranch_execz .LBB2_7
; %bb.21:                               ;   in Loop: Header=BB2_8 Depth=2
	v_cmp_nle_f32_e32 vcc_lo, s47, v21
	v_cmp_nle_f32_e64 s0, s46, v20
	v_cmp_nge_f32_e64 s1, -1.0, v21
	v_mov_b32_e32 v2, 0
	s_and_b32 s0, s0, vcc_lo
	s_delay_alu instid0(SALU_CYCLE_1) | instskip(NEXT) | instid1(SALU_CYCLE_1)
	s_and_b32 s0, s0, s1
	s_and_saveexec_b32 s43, s0
	s_cbranch_execz .LBB2_6
; %bb.22:                               ;   in Loop: Header=BB2_8 Depth=2
	v_floor_f32_e32 v2, v20
	v_floor_f32_e32 v18, v21
	v_lshl_add_u64 v[14:15], v[16:17], 2, v[12:13]
	s_mov_b32 s76, 0
	s_mov_b32 s0, exec_lo
	v_cvt_i32_f32_e32 v19, v2
	v_cvt_i32_f32_e32 v16, v18
                                        ; implicit-def: $vgpr2
	s_delay_alu instid0(VALU_DEP_2)
	v_add_nc_u32_e32 v18, 1, v19
	v_cmpx_lt_i32_e32 0, v32
	s_xor_b32 s77, exec_lo, s0
	s_cbranch_execnz .LBB2_25
; %bb.23:                               ;   in Loop: Header=BB2_8 Depth=2
	s_and_not1_saveexec_b32 s77, s77
	s_cbranch_execnz .LBB2_34
.LBB2_24:                               ;   in Loop: Header=BB2_8 Depth=2
	s_or_b32 exec_lo, exec_lo, s77
	s_and_saveexec_b32 s0, s76
	s_cbranch_execz .LBB2_5
	s_branch .LBB2_43
.LBB2_25:                               ;   in Loop: Header=BB2_8 Depth=2
	v_mov_b32_e32 v2, 0
	s_mov_b32 s0, 0
	s_mov_b32 s76, exec_lo
	v_cmpx_eq_u32_e32 1, v32
	s_cbranch_execz .LBB2_33
; %bb.26:                               ;   in Loop: Header=BB2_8 Depth=2
	v_cvt_f32_u32_e32 v21, v18
	v_dual_mov_b32 v2, 0 :: v_dual_bitop2_b32 v17, v19, v16 bitop3:0x54
	v_cmp_lt_i32_e64 s1, -1, v19
	s_mov_b32 s78, exec_lo
	v_sub_f32_e32 v21, v21, v20
	v_cmp_lt_i32_e32 vcc_lo, -1, v16
	v_cmpx_lt_i32_e32 -1, v17
	s_cbranch_execz .LBB2_28
; %bb.27:                               ;   in Loop: Header=BB2_8 Depth=2
	v_mad_u32 v22, s5, v19, v16
	s_delay_alu instid0(VALU_DEP_1) | instskip(NEXT) | instid1(VALU_DEP_1)
	v_ashrrev_i32_e32 v23, 31, v22
	v_lshl_add_u64 v[22:23], v[22:23], 2, v[14:15]
	global_load_b32 v2, v[22:23], off
	s_wait_loadcnt 0x0
	v_fma_f32 v2, -v21, v2, 0
.LBB2_28:                               ;   in Loop: Header=BB2_8 Depth=2
	s_wait_xcnt 0x0
	s_or_b32 exec_lo, exec_lo, s78
	v_cmp_gt_i32_e64 s0, s48, v16
	s_and_b32 s78, s1, s0
	s_delay_alu instid0(SALU_CYCLE_1)
	s_and_saveexec_b32 s1, s78
	s_cbranch_execz .LBB2_30
; %bb.29:                               ;   in Loop: Header=BB2_8 Depth=2
	v_mul_lo_u32 v22, s5, v19
	s_delay_alu instid0(VALU_DEP_1) | instskip(NEXT) | instid1(VALU_DEP_1)
	v_dual_ashrrev_i32 v17, 31, v16 :: v_dual_ashrrev_i32 v23, 31, v22
	v_add_nc_u64_e32 v[22:23], v[16:17], v[22:23]
	s_delay_alu instid0(VALU_DEP_1)
	v_lshl_add_u64 v[22:23], v[22:23], 2, v[14:15]
	global_load_b32 v17, v[22:23], off offset:4
	s_wait_loadcnt 0x0
	v_fmac_f32_e32 v2, v21, v17
.LBB2_30:                               ;   in Loop: Header=BB2_8 Depth=2
	s_wait_xcnt 0x0
	s_or_b32 exec_lo, exec_lo, s1
	v_cmp_gt_i32_e64 s1, s4, v19
	s_and_b32 s79, s1, vcc_lo
	s_delay_alu instid0(SALU_CYCLE_1)
	s_and_saveexec_b32 s78, s79
	s_cbranch_execz .LBB2_32
; %bb.31:                               ;   in Loop: Header=BB2_8 Depth=2
	v_mad_u32 v22, v18, s5, v16
	v_cvt_f32_i32_e32 v21, v19
	s_delay_alu instid0(VALU_DEP_1) | instskip(NEXT) | instid1(VALU_DEP_1)
	v_dual_sub_f32 v21, v20, v21 :: v_dual_ashrrev_i32 v23, 31, v22
	v_lshl_add_u64 v[22:23], v[22:23], 2, v[14:15]
	global_load_b32 v17, v[22:23], off
	s_wait_loadcnt 0x0
	v_fma_f32 v2, -v21, v17, v2
.LBB2_32:                               ;   in Loop: Header=BB2_8 Depth=2
	s_wait_xcnt 0x0
	s_or_b32 exec_lo, exec_lo, s78
	s_and_b32 s0, s1, s0
	s_delay_alu instid0(SALU_CYCLE_1)
	s_and_b32 s0, s0, exec_lo
.LBB2_33:                               ;   in Loop: Header=BB2_8 Depth=2
	s_or_b32 exec_lo, exec_lo, s76
	s_delay_alu instid0(SALU_CYCLE_1)
	s_and_b32 s76, s0, exec_lo
                                        ; implicit-def: $vgpr21
	s_and_not1_saveexec_b32 s77, s77
	s_cbranch_execz .LBB2_24
.LBB2_34:                               ;   in Loop: Header=BB2_8 Depth=2
	v_mov_b32_e32 v2, 0
	s_mov_b32 s0, s76
	s_mov_b32 s78, exec_lo
	v_cmpx_eq_u32_e32 0, v32
	s_cbranch_execz .LBB2_42
; %bb.35:                               ;   in Loop: Header=BB2_8 Depth=2
	v_dual_add_nc_u32 v2, 1, v16 :: v_dual_bitop2_b32 v17, v19, v16 bitop3:0x54
	v_cmp_lt_i32_e64 s1, -1, v19
	s_mov_b32 s79, exec_lo
	v_cmp_lt_i32_e32 vcc_lo, -1, v16
	v_cvt_f32_u32_e32 v20, v2
	s_delay_alu instid0(VALU_DEP_1)
	v_dual_mov_b32 v2, 0 :: v_dual_sub_f32 v20, v20, v21
	v_cmpx_lt_i32_e32 -1, v17
	s_cbranch_execz .LBB2_37
; %bb.36:                               ;   in Loop: Header=BB2_8 Depth=2
	v_mad_u32 v22, s5, v19, v16
	s_delay_alu instid0(VALU_DEP_1) | instskip(NEXT) | instid1(VALU_DEP_1)
	v_ashrrev_i32_e32 v23, 31, v22
	v_lshl_add_u64 v[22:23], v[22:23], 2, v[14:15]
	global_load_b32 v2, v[22:23], off
	s_wait_loadcnt 0x0
	v_fma_f32 v2, -v20, v2, 0
.LBB2_37:                               ;   in Loop: Header=BB2_8 Depth=2
	s_wait_xcnt 0x0
	s_or_b32 exec_lo, exec_lo, s79
	v_cmp_gt_i32_e64 s0, s48, v16
	s_and_b32 s79, s1, s0
	s_delay_alu instid0(SALU_CYCLE_1)
	s_and_saveexec_b32 s1, s79
	s_cbranch_execz .LBB2_39
; %bb.38:                               ;   in Loop: Header=BB2_8 Depth=2
	v_mul_lo_u32 v22, s5, v19
	s_delay_alu instid0(VALU_DEP_1) | instskip(NEXT) | instid1(VALU_DEP_1)
	v_dual_ashrrev_i32 v17, 31, v16 :: v_dual_ashrrev_i32 v23, 31, v22
	v_add_nc_u64_e32 v[22:23], v[16:17], v[22:23]
	s_delay_alu instid0(VALU_DEP_1) | instskip(SKIP_3) | instid1(VALU_DEP_1)
	v_lshl_add_u64 v[22:23], v[22:23], 2, v[14:15]
	global_load_b32 v17, v[22:23], off offset:4
	s_wait_xcnt 0x0
	v_cvt_f32_i32_e32 v22, v16
	v_sub_f32_e32 v22, v21, v22
	s_wait_loadcnt 0x0
	s_delay_alu instid0(VALU_DEP_1)
	v_fma_f32 v2, -v22, v17, v2
.LBB2_39:                               ;   in Loop: Header=BB2_8 Depth=2
	s_or_b32 exec_lo, exec_lo, s1
	v_cmp_gt_i32_e64 s1, s4, v19
	s_and_b32 s80, s1, vcc_lo
	s_delay_alu instid0(SALU_CYCLE_1)
	s_and_saveexec_b32 s79, s80
	s_cbranch_execz .LBB2_41
; %bb.40:                               ;   in Loop: Header=BB2_8 Depth=2
	v_mad_u32 v22, v18, s5, v16
	s_delay_alu instid0(VALU_DEP_1) | instskip(NEXT) | instid1(VALU_DEP_1)
	v_ashrrev_i32_e32 v23, 31, v22
	v_lshl_add_u64 v[22:23], v[22:23], 2, v[14:15]
	global_load_b32 v17, v[22:23], off
	s_wait_loadcnt 0x0
	v_fmac_f32_e32 v2, v20, v17
.LBB2_41:                               ;   in Loop: Header=BB2_8 Depth=2
	s_wait_xcnt 0x0
	s_or_b32 exec_lo, exec_lo, s79
	s_and_b32 s0, s1, s0
	s_and_not1_b32 s1, s76, exec_lo
	s_and_b32 s0, s0, exec_lo
	s_delay_alu instid0(SALU_CYCLE_1)
	s_or_b32 s0, s1, s0
.LBB2_42:                               ;   in Loop: Header=BB2_8 Depth=2
	s_or_b32 exec_lo, exec_lo, s78
	v_dual_mov_b32 v20, v21 :: v_dual_mov_b32 v19, v16
	s_and_not1_b32 s1, s76, exec_lo
	s_and_b32 s0, s0, exec_lo
	s_delay_alu instid0(SALU_CYCLE_1)
	s_or_b32 s76, s1, s0
	s_or_b32 exec_lo, exec_lo, s77
	s_and_saveexec_b32 s0, s76
	s_cbranch_execz .LBB2_5
.LBB2_43:                               ;   in Loop: Header=BB2_8 Depth=2
	v_mul_lo_u32 v22, v18, s5
	s_delay_alu instid0(VALU_DEP_1) | instskip(NEXT) | instid1(VALU_DEP_1)
	v_dual_ashrrev_i32 v17, 31, v16 :: v_dual_ashrrev_i32 v23, 31, v22
	v_add_nc_u64_e32 v[16:17], v[22:23], v[16:17]
	s_delay_alu instid0(VALU_DEP_1) | instskip(SKIP_3) | instid1(VALU_DEP_1)
	v_lshl_add_u64 v[14:15], v[16:17], 2, v[14:15]
	global_load_b32 v14, v[14:15], off offset:4
	s_wait_xcnt 0x0
	v_cvt_f32_i32_e32 v15, v19
	v_sub_f32_e32 v15, v20, v15
	s_wait_loadcnt 0x0
	s_delay_alu instid0(VALU_DEP_1)
	v_fmac_f32_e32 v2, v15, v14
	s_branch .LBB2_5
.LBB2_44:                               ;   in Loop: Header=BB2_3 Depth=1
	s_or_b32 exec_lo, exec_lo, s75
.LBB2_45:                               ;   in Loop: Header=BB2_3 Depth=1
	s_delay_alu instid0(SALU_CYCLE_1)
	s_or_b32 exec_lo, exec_lo, s74
	v_and_b32_e32 v0, 1, v27
	s_mov_b32 s0, exec_lo
	global_store_b32 v24, v31, s[28:29] scale_offset
	s_wait_xcnt 0x0
	v_cmpx_eq_u32_e32 0, v0
	s_cbranch_execz .LBB2_2
; %bb.46:                               ;   in Loop: Header=BB2_3 Depth=1
	v_mul_lo_u32 v0, v26, s18
	v_mul_lo_u32 v2, v25, s19
	v_add_nc_u32_e32 v4, v29, v28
	s_delay_alu instid0(VALU_DEP_2) | instskip(NEXT) | instid1(VALU_DEP_1)
	v_dual_sub_nc_u32 v0, v25, v0 :: v_dual_sub_nc_u32 v2, v24, v2
	v_mad_u32 v0, v4, s18, v0
	s_delay_alu instid0(VALU_DEP_1)
	v_mad_u32 v0, v0, s19, v2
	global_store_b32 v0, v30, s[30:31] scale_offset
	s_branch .LBB2_2
.LBB2_47:
	s_endpgm
	.section	.rodata,"a",@progbits
	.p2align	6, 0x0
	.amdhsa_kernel _Z44modulated_deformable_col2im_coord_gpu_kerneliPKfS0_S0_S0_iiiiiiiiiiiiiiiiiPfS1_
		.amdhsa_group_segment_fixed_size 0
		.amdhsa_private_segment_fixed_size 0
		.amdhsa_kernarg_size 384
		.amdhsa_user_sgpr_count 2
		.amdhsa_user_sgpr_dispatch_ptr 0
		.amdhsa_user_sgpr_queue_ptr 0
		.amdhsa_user_sgpr_kernarg_segment_ptr 1
		.amdhsa_user_sgpr_dispatch_id 0
		.amdhsa_user_sgpr_kernarg_preload_length 0
		.amdhsa_user_sgpr_kernarg_preload_offset 0
		.amdhsa_user_sgpr_private_segment_size 0
		.amdhsa_wavefront_size32 1
		.amdhsa_uses_dynamic_stack 0
		.amdhsa_enable_private_segment 0
		.amdhsa_system_sgpr_workgroup_id_x 1
		.amdhsa_system_sgpr_workgroup_id_y 0
		.amdhsa_system_sgpr_workgroup_id_z 0
		.amdhsa_system_sgpr_workgroup_info 0
		.amdhsa_system_vgpr_workitem_id 0
		.amdhsa_next_free_vgpr 38
		.amdhsa_next_free_sgpr 81
		.amdhsa_named_barrier_count 0
		.amdhsa_reserve_vcc 1
		.amdhsa_float_round_mode_32 0
		.amdhsa_float_round_mode_16_64 0
		.amdhsa_float_denorm_mode_32 3
		.amdhsa_float_denorm_mode_16_64 3
		.amdhsa_fp16_overflow 0
		.amdhsa_memory_ordered 1
		.amdhsa_forward_progress 1
		.amdhsa_inst_pref_size 33
		.amdhsa_round_robin_scheduling 0
		.amdhsa_exception_fp_ieee_invalid_op 0
		.amdhsa_exception_fp_denorm_src 0
		.amdhsa_exception_fp_ieee_div_zero 0
		.amdhsa_exception_fp_ieee_overflow 0
		.amdhsa_exception_fp_ieee_underflow 0
		.amdhsa_exception_fp_ieee_inexact 0
		.amdhsa_exception_int_div_zero 0
	.end_amdhsa_kernel
	.text
.Lfunc_end2:
	.size	_Z44modulated_deformable_col2im_coord_gpu_kerneliPKfS0_S0_S0_iiiiiiiiiiiiiiiiiPfS1_, .Lfunc_end2-_Z44modulated_deformable_col2im_coord_gpu_kerneliPKfS0_S0_S0_iiiiiiiiiiiiiiiiiPfS1_
                                        ; -- End function
	.set _Z44modulated_deformable_col2im_coord_gpu_kerneliPKfS0_S0_S0_iiiiiiiiiiiiiiiiiPfS1_.num_vgpr, 38
	.set _Z44modulated_deformable_col2im_coord_gpu_kerneliPKfS0_S0_S0_iiiiiiiiiiiiiiiiiPfS1_.num_agpr, 0
	.set _Z44modulated_deformable_col2im_coord_gpu_kerneliPKfS0_S0_S0_iiiiiiiiiiiiiiiiiPfS1_.numbered_sgpr, 81
	.set _Z44modulated_deformable_col2im_coord_gpu_kerneliPKfS0_S0_S0_iiiiiiiiiiiiiiiiiPfS1_.num_named_barrier, 0
	.set _Z44modulated_deformable_col2im_coord_gpu_kerneliPKfS0_S0_S0_iiiiiiiiiiiiiiiiiPfS1_.private_seg_size, 0
	.set _Z44modulated_deformable_col2im_coord_gpu_kerneliPKfS0_S0_S0_iiiiiiiiiiiiiiiiiPfS1_.uses_vcc, 1
	.set _Z44modulated_deformable_col2im_coord_gpu_kerneliPKfS0_S0_S0_iiiiiiiiiiiiiiiiiPfS1_.uses_flat_scratch, 0
	.set _Z44modulated_deformable_col2im_coord_gpu_kerneliPKfS0_S0_S0_iiiiiiiiiiiiiiiiiPfS1_.has_dyn_sized_stack, 0
	.set _Z44modulated_deformable_col2im_coord_gpu_kerneliPKfS0_S0_S0_iiiiiiiiiiiiiiiiiPfS1_.has_recursion, 0
	.set _Z44modulated_deformable_col2im_coord_gpu_kerneliPKfS0_S0_S0_iiiiiiiiiiiiiiiiiPfS1_.has_indirect_call, 0
	.section	.AMDGPU.csdata,"",@progbits
; Kernel info:
; codeLenInByte = 4208
; TotalNumSgprs: 83
; NumVgprs: 38
; ScratchSize: 0
; MemoryBound: 0
; FloatMode: 240
; IeeeMode: 1
; LDSByteSize: 0 bytes/workgroup (compile time only)
; SGPRBlocks: 0
; VGPRBlocks: 2
; NumSGPRsForWavesPerEU: 83
; NumVGPRsForWavesPerEU: 38
; NamedBarCnt: 0
; Occupancy: 16
; WaveLimiterHint : 1
; COMPUTE_PGM_RSRC2:SCRATCH_EN: 0
; COMPUTE_PGM_RSRC2:USER_SGPR: 2
; COMPUTE_PGM_RSRC2:TRAP_HANDLER: 0
; COMPUTE_PGM_RSRC2:TGID_X_EN: 1
; COMPUTE_PGM_RSRC2:TGID_Y_EN: 0
; COMPUTE_PGM_RSRC2:TGID_Z_EN: 0
; COMPUTE_PGM_RSRC2:TIDIG_COMP_CNT: 0
	.text
	.p2alignl 7, 3214868480
	.fill 96, 4, 3214868480
	.section	.AMDGPU.gpr_maximums,"",@progbits
	.set amdgpu.max_num_vgpr, 0
	.set amdgpu.max_num_agpr, 0
	.set amdgpu.max_num_sgpr, 0
	.text
	.type	__hip_cuid_cc8d14bf6e5ae487,@object ; @__hip_cuid_cc8d14bf6e5ae487
	.section	.bss,"aw",@nobits
	.globl	__hip_cuid_cc8d14bf6e5ae487
__hip_cuid_cc8d14bf6e5ae487:
	.byte	0                               ; 0x0
	.size	__hip_cuid_cc8d14bf6e5ae487, 1

	.ident	"AMD clang version 22.0.0git (https://github.com/RadeonOpenCompute/llvm-project roc-7.2.4 26084 f58b06dce1f9c15707c5f808fd002e18c2accf7e)"
	.section	".note.GNU-stack","",@progbits
	.addrsig
	.addrsig_sym __hip_cuid_cc8d14bf6e5ae487
	.amdgpu_metadata
---
amdhsa.kernels:
  - .args:
      - .offset:         0
        .size:           4
        .value_kind:     by_value
      - .address_space:  global
        .offset:         8
        .size:           8
        .value_kind:     global_buffer
      - .address_space:  global
        .offset:         16
        .size:           8
        .value_kind:     global_buffer
      - .address_space:  global
        .offset:         24
        .size:           8
        .value_kind:     global_buffer
      - .offset:         32
        .size:           4
        .value_kind:     by_value
      - .offset:         36
        .size:           4
        .value_kind:     by_value
      - .offset:         40
        .size:           4
        .value_kind:     by_value
      - .offset:         44
        .size:           4
        .value_kind:     by_value
      - .offset:         48
        .size:           4
        .value_kind:     by_value
      - .offset:         52
        .size:           4
        .value_kind:     by_value
      - .offset:         56
        .size:           4
        .value_kind:     by_value
      - .offset:         60
        .size:           4
        .value_kind:     by_value
      - .offset:         64
        .size:           4
        .value_kind:     by_value
      - .offset:         68
        .size:           4
        .value_kind:     by_value
      - .offset:         72
        .size:           4
        .value_kind:     by_value
      - .offset:         76
        .size:           4
        .value_kind:     by_value
      - .offset:         80
        .size:           4
        .value_kind:     by_value
      - .offset:         84
        .size:           4
        .value_kind:     by_value
      - .offset:         88
        .size:           4
        .value_kind:     by_value
      - .offset:         92
        .size:           4
        .value_kind:     by_value
      - .address_space:  global
        .offset:         96
        .size:           8
        .value_kind:     global_buffer
      - .offset:         104
        .size:           4
        .value_kind:     hidden_block_count_x
      - .offset:         108
        .size:           4
        .value_kind:     hidden_block_count_y
      - .offset:         112
        .size:           4
        .value_kind:     hidden_block_count_z
      - .offset:         116
        .size:           2
        .value_kind:     hidden_group_size_x
      - .offset:         118
        .size:           2
        .value_kind:     hidden_group_size_y
      - .offset:         120
        .size:           2
        .value_kind:     hidden_group_size_z
      - .offset:         122
        .size:           2
        .value_kind:     hidden_remainder_x
      - .offset:         124
        .size:           2
        .value_kind:     hidden_remainder_y
      - .offset:         126
        .size:           2
        .value_kind:     hidden_remainder_z
      - .offset:         144
        .size:           8
        .value_kind:     hidden_global_offset_x
      - .offset:         152
        .size:           8
        .value_kind:     hidden_global_offset_y
      - .offset:         160
        .size:           8
        .value_kind:     hidden_global_offset_z
      - .offset:         168
        .size:           2
        .value_kind:     hidden_grid_dims
    .group_segment_fixed_size: 0
    .kernarg_segment_align: 8
    .kernarg_segment_size: 360
    .language:       OpenCL C
    .language_version:
      - 2
      - 0
    .max_flat_workgroup_size: 1024
    .name:           _Z38modulated_deformable_im2col_gpu_kerneliPKfS0_S0_iiiiiiiiiiiiiiiiPf
    .private_segment_fixed_size: 0
    .sgpr_count:     70
    .sgpr_spill_count: 0
    .symbol:         _Z38modulated_deformable_im2col_gpu_kerneliPKfS0_S0_iiiiiiiiiiiiiiiiPf.kd
    .uniform_work_group_size: 1
    .uses_dynamic_stack: false
    .vgpr_count:     32
    .vgpr_spill_count: 0
    .wavefront_size: 32
  - .args:
      - .offset:         0
        .size:           4
        .value_kind:     by_value
      - .address_space:  global
        .offset:         8
        .size:           8
        .value_kind:     global_buffer
      - .address_space:  global
        .offset:         16
        .size:           8
        .value_kind:     global_buffer
      - .address_space:  global
        .offset:         24
        .size:           8
        .value_kind:     global_buffer
      - .offset:         32
        .size:           4
        .value_kind:     by_value
      - .offset:         36
        .size:           4
        .value_kind:     by_value
      - .offset:         40
        .size:           4
        .value_kind:     by_value
      - .offset:         44
        .size:           4
        .value_kind:     by_value
      - .offset:         48
        .size:           4
        .value_kind:     by_value
      - .offset:         52
        .size:           4
        .value_kind:     by_value
      - .offset:         56
        .size:           4
        .value_kind:     by_value
      - .offset:         60
        .size:           4
        .value_kind:     by_value
      - .offset:         64
        .size:           4
        .value_kind:     by_value
      - .offset:         68
        .size:           4
        .value_kind:     by_value
      - .offset:         72
        .size:           4
        .value_kind:     by_value
      - .offset:         76
        .size:           4
        .value_kind:     by_value
      - .offset:         80
        .size:           4
        .value_kind:     by_value
      - .offset:         84
        .size:           4
        .value_kind:     by_value
      - .offset:         88
        .size:           4
        .value_kind:     by_value
      - .offset:         92
        .size:           4
        .value_kind:     by_value
      - .address_space:  global
        .offset:         96
        .size:           8
        .value_kind:     global_buffer
      - .offset:         104
        .size:           4
        .value_kind:     hidden_block_count_x
      - .offset:         108
        .size:           4
        .value_kind:     hidden_block_count_y
      - .offset:         112
        .size:           4
        .value_kind:     hidden_block_count_z
      - .offset:         116
        .size:           2
        .value_kind:     hidden_group_size_x
      - .offset:         118
        .size:           2
        .value_kind:     hidden_group_size_y
      - .offset:         120
        .size:           2
        .value_kind:     hidden_group_size_z
      - .offset:         122
        .size:           2
        .value_kind:     hidden_remainder_x
      - .offset:         124
        .size:           2
        .value_kind:     hidden_remainder_y
      - .offset:         126
        .size:           2
        .value_kind:     hidden_remainder_z
      - .offset:         144
        .size:           8
        .value_kind:     hidden_global_offset_x
      - .offset:         152
        .size:           8
        .value_kind:     hidden_global_offset_y
      - .offset:         160
        .size:           8
        .value_kind:     hidden_global_offset_z
      - .offset:         168
        .size:           2
        .value_kind:     hidden_grid_dims
    .group_segment_fixed_size: 0
    .kernarg_segment_align: 8
    .kernarg_segment_size: 360
    .language:       OpenCL C
    .language_version:
      - 2
      - 0
    .max_flat_workgroup_size: 1024
    .name:           _Z38modulated_deformable_col2im_gpu_kerneliPKfS0_S0_iiiiiiiiiiiiiiiiPf
    .private_segment_fixed_size: 0
    .sgpr_count:     70
    .sgpr_spill_count: 0
    .symbol:         _Z38modulated_deformable_col2im_gpu_kerneliPKfS0_S0_iiiiiiiiiiiiiiiiPf.kd
    .uniform_work_group_size: 1
    .uses_dynamic_stack: false
    .vgpr_count:     24
    .vgpr_spill_count: 0
    .wavefront_size: 32
  - .args:
      - .offset:         0
        .size:           4
        .value_kind:     by_value
      - .address_space:  global
        .offset:         8
        .size:           8
        .value_kind:     global_buffer
      - .address_space:  global
        .offset:         16
        .size:           8
        .value_kind:     global_buffer
      - .address_space:  global
        .offset:         24
        .size:           8
        .value_kind:     global_buffer
      - .address_space:  global
        .offset:         32
        .size:           8
        .value_kind:     global_buffer
      - .offset:         40
        .size:           4
        .value_kind:     by_value
      - .offset:         44
        .size:           4
        .value_kind:     by_value
      - .offset:         48
        .size:           4
        .value_kind:     by_value
      - .offset:         52
        .size:           4
        .value_kind:     by_value
      - .offset:         56
        .size:           4
        .value_kind:     by_value
      - .offset:         60
        .size:           4
        .value_kind:     by_value
      - .offset:         64
        .size:           4
        .value_kind:     by_value
      - .offset:         68
        .size:           4
        .value_kind:     by_value
      - .offset:         72
        .size:           4
        .value_kind:     by_value
      - .offset:         76
        .size:           4
        .value_kind:     by_value
      - .offset:         80
        .size:           4
        .value_kind:     by_value
      - .offset:         84
        .size:           4
        .value_kind:     by_value
      - .offset:         88
        .size:           4
        .value_kind:     by_value
      - .offset:         92
        .size:           4
        .value_kind:     by_value
      - .offset:         96
        .size:           4
        .value_kind:     by_value
      - .offset:         100
        .size:           4
        .value_kind:     by_value
      - .offset:         104
        .size:           4
        .value_kind:     by_value
      - .address_space:  global
        .offset:         112
        .size:           8
        .value_kind:     global_buffer
      - .address_space:  global
        .offset:         120
        .size:           8
        .value_kind:     global_buffer
      - .offset:         128
        .size:           4
        .value_kind:     hidden_block_count_x
      - .offset:         132
        .size:           4
        .value_kind:     hidden_block_count_y
      - .offset:         136
        .size:           4
        .value_kind:     hidden_block_count_z
      - .offset:         140
        .size:           2
        .value_kind:     hidden_group_size_x
      - .offset:         142
        .size:           2
        .value_kind:     hidden_group_size_y
      - .offset:         144
        .size:           2
        .value_kind:     hidden_group_size_z
      - .offset:         146
        .size:           2
        .value_kind:     hidden_remainder_x
      - .offset:         148
        .size:           2
        .value_kind:     hidden_remainder_y
      - .offset:         150
        .size:           2
        .value_kind:     hidden_remainder_z
      - .offset:         168
        .size:           8
        .value_kind:     hidden_global_offset_x
      - .offset:         176
        .size:           8
        .value_kind:     hidden_global_offset_y
      - .offset:         184
        .size:           8
        .value_kind:     hidden_global_offset_z
      - .offset:         192
        .size:           2
        .value_kind:     hidden_grid_dims
    .group_segment_fixed_size: 0
    .kernarg_segment_align: 8
    .kernarg_segment_size: 384
    .language:       OpenCL C
    .language_version:
      - 2
      - 0
    .max_flat_workgroup_size: 1024
    .name:           _Z44modulated_deformable_col2im_coord_gpu_kerneliPKfS0_S0_S0_iiiiiiiiiiiiiiiiiPfS1_
    .private_segment_fixed_size: 0
    .sgpr_count:     83
    .sgpr_spill_count: 0
    .symbol:         _Z44modulated_deformable_col2im_coord_gpu_kerneliPKfS0_S0_S0_iiiiiiiiiiiiiiiiiPfS1_.kd
    .uniform_work_group_size: 1
    .uses_dynamic_stack: false
    .vgpr_count:     38
    .vgpr_spill_count: 0
    .wavefront_size: 32
amdhsa.target:   amdgcn-amd-amdhsa--gfx1250
amdhsa.version:
  - 1
  - 2
...

	.end_amdgpu_metadata
